;; amdgpu-corpus repo=ROCm/rocFFT kind=compiled arch=gfx1030 opt=O3
	.text
	.amdgcn_target "amdgcn-amd-amdhsa--gfx1030"
	.amdhsa_code_object_version 6
	.protected	bluestein_single_fwd_len78_dim1_dp_op_CI_CI ; -- Begin function bluestein_single_fwd_len78_dim1_dp_op_CI_CI
	.globl	bluestein_single_fwd_len78_dim1_dp_op_CI_CI
	.p2align	8
	.type	bluestein_single_fwd_len78_dim1_dp_op_CI_CI,@function
bluestein_single_fwd_len78_dim1_dp_op_CI_CI: ; @bluestein_single_fwd_len78_dim1_dp_op_CI_CI
; %bb.0:
	s_load_dwordx4 s[12:15], s[4:5], 0x28
	v_mul_u32_u24_e32 v1, 0x13b2, v0
	s_mov_b64 s[46:47], s[2:3]
	s_mov_b64 s[44:45], s[0:1]
	s_mov_b32 s0, exec_lo
	s_add_u32 s44, s44, s7
	v_lshrrev_b32_e32 v1, 16, v1
	s_addc_u32 s45, s45, 0
	v_mad_u64_u32 v[124:125], null, s6, 19, v[1:2]
	v_mov_b32_e32 v125, 0
	s_waitcnt lgkmcnt(0)
	v_cmpx_gt_u64_e64 s[12:13], v[124:125]
	s_cbranch_execz .LBB0_10
; %bb.1:
	s_clause 0x1
	s_load_dwordx4 s[0:3], s[4:5], 0x18
	s_load_dwordx4 s[8:11], s[4:5], 0x0
	v_mul_lo_u16 v1, v1, 13
	v_mul_hi_u32 v48, 0xaf286bcb, v124
	s_mov_b32 s13, 0xbfebb67a
	s_load_dwordx2 s[4:5], s[4:5], 0x38
                                        ; implicit-def: $vgpr80_vgpr81
                                        ; implicit-def: $vgpr84_vgpr85
                                        ; implicit-def: $vgpr76_vgpr77
	v_sub_nc_u16 v72, v0, v1
	v_sub_nc_u32_e32 v49, v124, v48
	v_and_b32_e32 v88, 0xffff, v72
	v_lshrrev_b32_e32 v49, 1, v49
	v_lshlrev_b32_e32 v147, 4, v88
	s_waitcnt lgkmcnt(0)
	s_load_dwordx4 s[16:19], s[0:1], 0x0
	v_add_nc_u32_e32 v48, v49, v48
	v_lshrrev_b32_e32 v73, 4, v48
	v_mul_lo_u32 v73, v73, 19
	v_sub_nc_u32_e32 v73, v124, v73
	s_waitcnt lgkmcnt(0)
	v_mad_u64_u32 v[0:1], null, s18, v124, 0
	v_mad_u64_u32 v[2:3], null, s16, v88, 0
	s_mul_i32 s0, s17, 0xd0
	s_mul_hi_u32 s1, s16, 0xd0
	s_mul_i32 s6, s16, 0xd0
	s_add_i32 s1, s1, s0
	v_mad_u64_u32 v[4:5], null, s19, v124, v[1:2]
	v_mad_u64_u32 v[5:6], null, s17, v88, v[3:4]
	v_mov_b32_e32 v1, v4
	v_lshlrev_b64 v[0:1], 4, v[0:1]
	v_mov_b32_e32 v3, v5
	v_add_co_u32 v0, vcc_lo, s14, v0
	v_lshlrev_b64 v[2:3], 4, v[2:3]
	v_add_co_ci_u32_e32 v1, vcc_lo, s15, v1, vcc_lo
	v_add_co_u32 v16, vcc_lo, v0, v2
	v_add_co_ci_u32_e32 v17, vcc_lo, v1, v3, vcc_lo
	s_clause 0x1
	global_load_dwordx4 v[0:3], v147, s[8:9]
	global_load_dwordx4 v[4:7], v147, s[8:9] offset:208
	v_add_co_u32 v18, vcc_lo, v16, s6
	v_add_co_ci_u32_e32 v19, vcc_lo, s1, v17, vcc_lo
	s_clause 0x1
	global_load_dwordx4 v[8:11], v147, s[8:9] offset:416
	global_load_dwordx4 v[12:15], v147, s[8:9] offset:624
	v_add_co_u32 v20, vcc_lo, v18, s6
	v_add_co_ci_u32_e32 v21, vcc_lo, s1, v19, vcc_lo
	global_load_dwordx4 v[24:27], v[16:17], off
	v_add_co_u32 v22, vcc_lo, v20, s6
	v_add_co_ci_u32_e32 v23, vcc_lo, s1, v21, vcc_lo
	s_clause 0x1
	global_load_dwordx4 v[28:31], v[18:19], off
	global_load_dwordx4 v[32:35], v[20:21], off
	v_add_co_u32 v16, vcc_lo, v22, s6
	v_add_co_ci_u32_e32 v17, vcc_lo, s1, v23, vcc_lo
	v_add_co_u32 v44, vcc_lo, v16, s6
	v_add_co_ci_u32_e32 v45, vcc_lo, s1, v17, vcc_lo
	s_clause 0x1
	global_load_dwordx4 v[36:39], v[22:23], off
	global_load_dwordx4 v[40:43], v[16:17], off
	s_clause 0x1
	global_load_dwordx4 v[16:19], v147, s[8:9] offset:832
	global_load_dwordx4 v[20:23], v147, s[8:9] offset:1040
	global_load_dwordx4 v[44:47], v[44:45], off
	s_load_dwordx4 s[0:3], s[2:3], 0x0
	s_mov_b32 s6, 0xe8584caa
	s_mov_b32 s7, 0x3febb67a
	;; [unrolled: 1-line block ×3, first 2 shown]
	v_cmp_gt_u16_e32 vcc_lo, 6, v72
	s_waitcnt vmcnt(7)
	v_mul_f64 v[48:49], v[26:27], v[2:3]
	v_mul_f64 v[50:51], v[24:25], v[2:3]
	s_waitcnt vmcnt(6)
	v_mul_f64 v[52:53], v[30:31], v[6:7]
	v_mul_f64 v[54:55], v[28:29], v[6:7]
	;; [unrolled: 3-line block ×6, first 2 shown]
	v_fma_f64 v[24:25], v[24:25], v[0:1], v[48:49]
	v_fma_f64 v[26:27], v[26:27], v[0:1], -v[50:51]
	v_mul_u32_u24_e32 v48, 0x4e, v73
	v_fma_f64 v[28:29], v[28:29], v[4:5], v[52:53]
	v_fma_f64 v[30:31], v[30:31], v[4:5], -v[54:55]
	v_fma_f64 v[32:33], v[32:33], v[8:9], v[56:57]
	v_fma_f64 v[34:35], v[34:35], v[8:9], -v[58:59]
	v_fma_f64 v[36:37], v[36:37], v[12:13], v[60:61]
	v_fma_f64 v[38:39], v[38:39], v[12:13], -v[62:63]
	v_fma_f64 v[40:41], v[40:41], v[16:17], v[64:65]
	v_fma_f64 v[42:43], v[42:43], v[16:17], -v[66:67]
	v_fma_f64 v[44:45], v[44:45], v[20:21], v[68:69]
	v_fma_f64 v[46:47], v[46:47], v[20:21], -v[70:71]
	v_lshlrev_b32_e32 v68, 4, v48
	v_add_nc_u32_e32 v255, v147, v68
	ds_write_b128 v255, v[24:27]
	ds_write_b128 v255, v[28:31] offset:208
	ds_write_b128 v255, v[32:35] offset:416
	;; [unrolled: 1-line block ×5, first 2 shown]
	s_waitcnt lgkmcnt(0)
	s_barrier
	buffer_gl0_inv
	ds_read_b128 v[24:27], v255 offset:624
	ds_read_b128 v[28:31], v255 offset:1040
	;; [unrolled: 1-line block ×5, first 2 shown]
	buffer_store_dword v68, off, s[44:47], 0 offset:4 ; 4-byte Folded Spill
	s_waitcnt lgkmcnt(3)
	v_add_f64 v[44:45], v[26:27], v[30:31]
	v_add_f64 v[46:47], v[24:25], v[28:29]
	v_add_f64 v[48:49], v[26:27], -v[30:31]
	v_add_f64 v[50:51], v[24:25], -v[28:29]
	s_waitcnt lgkmcnt(0)
	v_add_f64 v[56:57], v[36:37], v[40:41]
	v_add_f64 v[58:59], v[38:39], v[42:43]
	;; [unrolled: 1-line block ×4, first 2 shown]
	v_fma_f64 v[52:53], v[44:45], -0.5, v[34:35]
	v_fma_f64 v[54:55], v[46:47], -0.5, v[32:33]
	ds_read_b128 v[44:47], v255
	v_add_f64 v[34:35], v[36:37], -v[40:41]
	s_waitcnt lgkmcnt(0)
	s_waitcnt_vscnt null, 0x0
	s_barrier
	v_add_f64 v[24:25], v[24:25], v[28:29]
	v_add_f64 v[26:27], v[26:27], v[30:31]
	buffer_gl0_inv
	v_fma_f64 v[32:33], v[56:57], -0.5, v[44:45]
	v_fma_f64 v[60:61], v[50:51], s[12:13], v[52:53]
	v_fma_f64 v[62:63], v[48:49], s[12:13], v[54:55]
	;; [unrolled: 1-line block ×4, first 2 shown]
	v_add_f64 v[52:53], v[44:45], v[36:37]
	v_add_f64 v[54:55], v[38:39], -v[42:43]
	v_add_f64 v[38:39], v[46:47], v[38:39]
	v_fma_f64 v[36:37], v[58:59], -0.5, v[46:47]
	v_mul_f64 v[44:45], v[60:61], s[6:7]
	v_mul_f64 v[46:47], v[62:63], -0.5
	v_mul_f64 v[56:57], v[48:49], s[12:13]
	v_mul_f64 v[58:59], v[50:51], -0.5
	v_add_f64 v[40:41], v[52:53], v[40:41]
	v_fma_f64 v[52:53], v[54:55], s[6:7], v[32:33]
	v_add_f64 v[38:39], v[38:39], v[42:43]
	v_fma_f64 v[54:55], v[54:55], s[12:13], v[32:33]
	v_fma_f64 v[64:65], v[34:35], s[12:13], v[36:37]
	;; [unrolled: 1-line block ×3, first 2 shown]
	v_fma_f64 v[32:33], v[48:49], 0.5, v[44:45]
	v_fma_f64 v[34:35], v[50:51], s[6:7], v[46:47]
	v_fma_f64 v[48:49], v[60:61], 0.5, v[56:57]
	v_fma_f64 v[50:51], v[62:63], s[12:13], v[58:59]
	v_add_f64 v[100:101], v[40:41], v[24:25]
	v_add_f64 v[44:45], v[40:41], -v[24:25]
	v_add_f64 v[102:103], v[38:39], v[26:27]
	v_add_f64 v[46:47], v[38:39], -v[26:27]
	v_mul_lo_u16 v56, v72, 6
	v_add_co_u32 v104, s6, s8, v147
	v_add_co_ci_u32_e64 v105, null, s9, 0, s6
	v_and_b32_e32 v24, 0xffff, v56
                                        ; implicit-def: $vgpr60_vgpr61
                                        ; implicit-def: $vgpr72_vgpr73
	v_lshl_add_u32 v148, v24, 4, v68
                                        ; implicit-def: $vgpr68_vgpr69
	v_add_f64 v[28:29], v[52:53], v[32:33]
	v_add_f64 v[40:41], v[54:55], v[34:35]
	;; [unrolled: 1-line block ×4, first 2 shown]
	v_add_f64 v[32:33], v[52:53], -v[32:33]
	v_add_f64 v[36:37], v[54:55], -v[34:35]
	;; [unrolled: 1-line block ×4, first 2 shown]
                                        ; implicit-def: $vgpr64_vgpr65
	ds_write_b128 v148, v[100:103]
	ds_write_b128 v148, v[44:47] offset:48
	ds_write_b128 v148, v[28:31] offset:16
	ds_write_b128 v148, v[40:43] offset:32
	ds_write_b128 v148, v[32:35] offset:64
	ds_write_b128 v148, v[36:39] offset:80
	s_waitcnt lgkmcnt(0)
	s_barrier
	buffer_gl0_inv
	s_and_saveexec_b32 s6, vcc_lo
	s_cbranch_execz .LBB0_3
; %bb.2:
	ds_read_b128 v[100:103], v255
	ds_read_b128 v[28:31], v255 offset:96
	ds_read_b128 v[40:43], v255 offset:192
	;; [unrolled: 1-line block ×12, first 2 shown]
.LBB0_3:
	s_or_b32 exec_lo, exec_lo, s6
	v_and_b32_e32 v24, 0xff, v88
	buffer_store_dword v88, off, s[44:47], 0 ; 4-byte Folded Spill
	s_mov_b32 s22, 0x42a4c3d2
	s_mov_b32 s21, 0xbfddbe06
	;; [unrolled: 1-line block ×3, first 2 shown]
	v_mul_lo_u16 v24, 0xab, v24
	s_mov_b32 s23, 0xbfea55e2
	s_mov_b32 s6, 0x1ea71119
	;; [unrolled: 1-line block ×4, first 2 shown]
	v_lshrrev_b16 v24, 10, v24
	s_mov_b32 s27, 0xbfefc445
	s_mov_b32 s12, 0xebaa3ed8
	;; [unrolled: 1-line block ×4, first 2 shown]
	v_mul_lo_u16 v24, v24, 6
	s_mov_b32 s25, 0xbfedeba7
	s_mov_b32 s16, 0xb2365da1
	;; [unrolled: 1-line block ×4, first 2 shown]
	v_sub_nc_u16 v24, v88, v24
	s_mov_b32 s29, 0xbfe5384d
	s_mov_b32 s14, 0xd0032e0c
	;; [unrolled: 1-line block ×4, first 2 shown]
	v_mul_lo_u16 v24, v24, 12
	s_mov_b32 s31, 0xbfcea1e5
	s_mov_b32 s18, 0x93053d00
	;; [unrolled: 1-line block ×4, first 2 shown]
	v_and_b32_e32 v24, 0xfc, v24
	s_mov_b32 s36, s28
	s_mov_b32 s35, 0x3fefc445
	;; [unrolled: 1-line block ×4, first 2 shown]
	v_lshlrev_b32_e32 v94, 4, v24
	s_mov_b32 s38, s24
	s_clause 0x3
	global_load_dwordx4 v[48:51], v94, s[10:11]
	global_load_dwordx4 v[56:59], v94, s[10:11] offset:16
	global_load_dwordx4 v[52:55], v94, s[10:11] offset:32
	;; [unrolled: 1-line block ×3, first 2 shown]
	s_waitcnt vmcnt(3) lgkmcnt(11)
	v_mul_f64 v[88:89], v[30:31], v[50:51]
	v_mul_f64 v[90:91], v[28:29], v[50:51]
	s_waitcnt vmcnt(2) lgkmcnt(10)
	v_mul_f64 v[92:93], v[42:43], v[58:59]
	v_fma_f64 v[151:152], v[28:29], v[48:49], -v[88:89]
	v_mul_f64 v[28:29], v[40:41], v[58:59]
	v_fma_f64 v[153:154], v[30:31], v[48:49], v[90:91]
	s_waitcnt vmcnt(1) lgkmcnt(9)
	v_mul_f64 v[30:31], v[46:47], v[54:55]
	v_fma_f64 v[106:107], v[40:41], v[56:57], -v[92:93]
	s_waitcnt vmcnt(0) lgkmcnt(8)
	v_mul_f64 v[40:41], v[34:35], v[26:27]
	v_fma_f64 v[112:113], v[42:43], v[56:57], v[28:29]
	v_mul_f64 v[28:29], v[44:45], v[54:55]
	v_fma_f64 v[88:89], v[44:45], v[52:53], -v[30:31]
	v_fma_f64 v[92:93], v[32:33], v[24:25], -v[40:41]
	v_fma_f64 v[90:91], v[46:47], v[52:53], v[28:29]
	v_mul_f64 v[28:29], v[32:33], v[26:27]
	v_fma_f64 v[95:96], v[34:35], v[24:25], v[28:29]
	s_clause 0x1
	global_load_dwordx4 v[32:35], v94, s[10:11] offset:64
	global_load_dwordx4 v[28:31], v94, s[10:11] offset:80
	s_waitcnt vmcnt(1) lgkmcnt(7)
	v_mul_f64 v[40:41], v[38:39], v[34:35]
	v_fma_f64 v[97:98], v[36:37], v[32:33], -v[40:41]
	v_mul_f64 v[36:37], v[36:37], v[34:35]
	v_fma_f64 v[108:109], v[38:39], v[32:33], v[36:37]
	s_waitcnt vmcnt(0) lgkmcnt(6)
	v_mul_f64 v[36:37], v[82:83], v[30:31]
	v_fma_f64 v[110:111], v[80:81], v[28:29], -v[36:37]
	v_mul_f64 v[36:37], v[80:81], v[30:31]
	v_fma_f64 v[82:83], v[82:83], v[28:29], v[36:37]
	s_clause 0x1
	global_load_dwordx4 v[36:39], v94, s[10:11] offset:96
	global_load_dwordx4 v[40:43], v94, s[10:11] offset:112
	s_waitcnt vmcnt(1) lgkmcnt(5)
	v_mul_f64 v[44:45], v[62:63], v[38:39]
	v_fma_f64 v[118:119], v[60:61], v[36:37], -v[44:45]
	v_mul_f64 v[44:45], v[60:61], v[38:39]
	v_add_f64 v[175:176], v[110:111], v[118:119]
	v_fma_f64 v[120:121], v[62:63], v[36:37], v[44:45]
	s_waitcnt vmcnt(0) lgkmcnt(4)
	v_mul_f64 v[44:45], v[86:87], v[42:43]
	v_add_f64 v[191:192], v[82:83], -v[120:121]
	v_fma_f64 v[114:115], v[84:85], v[40:41], -v[44:45]
	v_mul_f64 v[44:45], v[84:85], v[42:43]
	v_mul_f64 v[213:214], v[191:192], s[30:31]
	v_add_f64 v[171:172], v[97:98], v[114:115]
	v_fma_f64 v[116:117], v[86:87], v[40:41], v[44:45]
	s_clause 0x1
	global_load_dwordx4 v[44:47], v94, s[10:11] offset:128
	global_load_dwordx4 v[60:63], v94, s[10:11] offset:144
	v_add_f64 v[187:188], v[108:109], -v[116:117]
	v_mul_f64 v[235:236], v[187:188], s[34:35]
	s_waitcnt vmcnt(1) lgkmcnt(3)
	v_mul_f64 v[80:81], v[66:67], v[46:47]
	v_fma_f64 v[129:130], v[64:65], v[44:45], -v[80:81]
	v_mul_f64 v[64:65], v[64:65], v[46:47]
	v_add_f64 v[165:166], v[92:93], v[129:130]
	v_fma_f64 v[131:132], v[66:67], v[44:45], v[64:65]
	s_waitcnt vmcnt(0) lgkmcnt(2)
	v_mul_f64 v[64:65], v[70:71], v[62:63]
	v_add_f64 v[179:180], v[95:96], -v[131:132]
	v_fma_f64 v[122:123], v[68:69], v[60:61], -v[64:65]
	v_mul_f64 v[64:65], v[68:69], v[62:63]
	v_mul_f64 v[227:228], v[179:180], s[36:37]
	v_add_f64 v[159:160], v[88:89], v[122:123]
	v_fma_f64 v[127:128], v[70:71], v[60:61], v[64:65]
	s_clause 0x1
	global_load_dwordx4 v[64:67], v94, s[10:11] offset:160
	global_load_dwordx4 v[68:71], v94, s[10:11] offset:176
	s_mov_b32 s10, 0xe00740e9
	s_mov_b32 s11, 0x3fec55a7
	v_mul_f64 v[251:252], v[179:180], s[26:27]
	v_add_f64 v[173:174], v[90:91], -v[127:128]
	v_mul_f64 v[219:220], v[173:174], s[30:31]
	v_mul_f64 v[211:212], v[173:174], s[38:39]
	;; [unrolled: 1-line block ×3, first 2 shown]
	s_waitcnt vmcnt(1) lgkmcnt(1)
	v_mul_f64 v[80:81], v[74:75], v[66:67]
	v_fma_f64 v[86:87], v[72:73], v[64:65], -v[80:81]
	v_mul_f64 v[72:73], v[72:73], v[66:67]
	v_add_f64 v[155:156], v[106:107], v[86:87]
	v_fma_f64 v[125:126], v[74:75], v[64:65], v[72:73]
	s_waitcnt vmcnt(0) lgkmcnt(0)
	v_mul_f64 v[72:73], v[76:77], v[70:71]
	v_fma_f64 v[80:81], v[78:79], v[68:69], v[72:73]
	v_mul_f64 v[72:73], v[78:79], v[70:71]
	v_add_f64 v[78:79], v[112:113], -v[125:126]
	v_fma_f64 v[84:85], v[76:77], v[68:69], -v[72:73]
	v_add_f64 v[76:77], v[153:154], -v[80:81]
	v_mul_f64 v[74:75], v[78:79], s[22:23]
	v_mul_f64 v[215:216], v[78:79], s[24:25]
	;; [unrolled: 1-line block ×4, first 2 shown]
	v_add_f64 v[185:186], v[151:152], v[84:85]
	v_mul_f64 v[72:73], v[76:77], s[20:21]
	v_mul_f64 v[133:134], v[76:77], s[24:25]
	buffer_store_dword v72, off, s[44:47], 0 offset:216 ; 4-byte Folded Spill
	buffer_store_dword v73, off, s[44:47], 0 offset:220 ; 4-byte Folded Spill
	;; [unrolled: 1-line block ×16, first 2 shown]
	v_mul_f64 v[143:144], v[76:77], s[28:29]
	v_fma_f64 v[72:73], v[185:186], s[10:11], v[72:73]
	v_fma_f64 v[74:75], v[155:156], s[6:7], v[74:75]
	v_add_f64 v[84:85], v[151:152], -v[84:85]
	v_add_f64 v[203:204], v[153:154], v[80:81]
	v_add_f64 v[86:87], v[106:107], -v[86:87]
	v_add_f64 v[157:158], v[112:113], v[125:126]
	v_mul_f64 v[125:126], v[76:77], s[26:27]
	v_add_f64 v[72:73], v[100:101], v[72:73]
	v_mul_f64 v[201:202], v[84:85], s[20:21]
	s_mov_b32 s21, 0x3fddbe06
	v_mul_f64 v[80:81], v[86:87], s[22:23]
	buffer_store_dword v80, off, s[44:47], 0 offset:192 ; 4-byte Folded Spill
	buffer_store_dword v81, off, s[44:47], 0 offset:196 ; 4-byte Folded Spill
	v_add_f64 v[72:73], v[74:75], v[72:73]
	v_fma_f64 v[74:75], v[203:204], s[10:11], -v[201:202]
	v_mul_f64 v[225:226], v[86:87], s[24:25]
	v_mul_f64 v[233:234], v[191:192], s[20:21]
	;; [unrolled: 1-line block ×9, first 2 shown]
	v_add_f64 v[74:75], v[102:103], v[74:75]
	v_fma_f64 v[112:113], v[157:158], s[12:13], -v[135:136]
	v_fma_f64 v[80:81], v[157:158], s[6:7], -v[80:81]
	v_add_f64 v[74:75], v[80:81], v[74:75]
	v_mul_f64 v[80:81], v[173:174], s[26:27]
	buffer_store_dword v80, off, s[44:47], 0 offset:200 ; 4-byte Folded Spill
	buffer_store_dword v81, off, s[44:47], 0 offset:204 ; 4-byte Folded Spill
	;; [unrolled: 1-line block ×10, first 2 shown]
	v_mul_f64 v[173:174], v[173:174], s[28:29]
	v_fma_f64 v[80:81], v[159:160], s[12:13], v[80:81]
	v_add_f64 v[149:150], v[88:89], -v[122:123]
	v_add_f64 v[161:162], v[90:91], v[127:128]
	v_add_f64 v[72:73], v[80:81], v[72:73]
	v_mul_f64 v[80:81], v[149:150], s[26:27]
	buffer_store_dword v80, off, s[44:47], 0 offset:208 ; 4-byte Folded Spill
	buffer_store_dword v81, off, s[44:47], 0 offset:212 ; 4-byte Folded Spill
	v_mul_f64 v[231:232], v[149:150], s[30:31]
	v_mul_f64 v[221:222], v[149:150], s[38:39]
	;; [unrolled: 1-line block ×5, first 2 shown]
	v_fma_f64 v[80:81], v[161:162], s[12:13], -v[80:81]
	v_add_f64 v[74:75], v[80:81], v[74:75]
	v_mul_f64 v[80:81], v[179:180], s[24:25]
	buffer_store_dword v80, off, s[44:47], 0 offset:224 ; 4-byte Folded Spill
	buffer_store_dword v81, off, s[44:47], 0 offset:228 ; 4-byte Folded Spill
	;; [unrolled: 1-line block ×10, first 2 shown]
	v_fma_f64 v[80:81], v[165:166], s[16:17], v[80:81]
	v_add_f64 v[183:184], v[92:93], -v[129:130]
	v_add_f64 v[169:170], v[95:96], v[131:132]
	v_mul_f64 v[129:130], v[84:85], s[26:27]
	v_mul_f64 v[131:132], v[78:79], s[34:35]
	v_fma_f64 v[78:79], v[155:156], s[10:11], -v[197:198]
	v_fma_f64 v[197:198], v[155:156], s[10:11], v[197:198]
	v_add_f64 v[72:73], v[80:81], v[72:73]
	v_mul_f64 v[80:81], v[183:184], s[24:25]
	buffer_store_dword v80, off, s[44:47], 0 offset:232 ; 4-byte Folded Spill
	buffer_store_dword v81, off, s[44:47], 0 offset:236 ; 4-byte Folded Spill
	v_mul_f64 v[241:242], v[183:184], s[36:37]
	v_mul_f64 v[209:210], v[183:184], s[20:21]
	;; [unrolled: 1-line block ×3, first 2 shown]
	s_mov_b32 s27, 0x3fcea1e5
	s_mov_b32 s26, s30
	v_mul_f64 v[247:248], v[187:188], s[26:27]
	v_mul_f64 v[122:123], v[179:180], s[26:27]
	;; [unrolled: 1-line block ×3, first 2 shown]
	v_fma_f64 v[80:81], v[169:170], s[16:17], -v[80:81]
	v_add_f64 v[74:75], v[80:81], v[74:75]
	v_mul_f64 v[80:81], v[187:188], s[28:29]
	buffer_store_dword v80, off, s[44:47], 0 offset:248 ; 4-byte Folded Spill
	buffer_store_dword v81, off, s[44:47], 0 offset:252 ; 4-byte Folded Spill
	buffer_store_dword v97, off, s[44:47], 0 offset:40 ; 4-byte Folded Spill
	buffer_store_dword v98, off, s[44:47], 0 offset:44 ; 4-byte Folded Spill
	buffer_store_dword v114, off, s[44:47], 0 offset:88 ; 4-byte Folded Spill
	buffer_store_dword v115, off, s[44:47], 0 offset:92 ; 4-byte Folded Spill
	buffer_store_dword v108, off, s[44:47], 0 offset:56 ; 4-byte Folded Spill
	buffer_store_dword v109, off, s[44:47], 0 offset:60 ; 4-byte Folded Spill
	buffer_store_dword v116, off, s[44:47], 0 offset:96 ; 4-byte Folded Spill
	buffer_store_dword v117, off, s[44:47], 0 offset:100 ; 4-byte Folded Spill
	v_fma_f64 v[80:81], v[171:172], s[14:15], v[80:81]
	v_add_f64 v[189:190], v[97:98], -v[114:115]
	v_add_f64 v[177:178], v[108:109], v[116:117]
	v_mul_f64 v[114:115], v[84:85], s[22:23]
	v_mul_f64 v[108:109], v[86:87], s[36:37]
	s_mov_b32 s37, 0x3fea55e2
	s_mov_b32 s36, s22
	v_mul_f64 v[84:85], v[84:85], s[30:31]
	v_mul_f64 v[223:224], v[191:192], s[36:37]
	;; [unrolled: 1-line block ×5, first 2 shown]
	v_add_f64 v[72:73], v[80:81], v[72:73]
	v_mul_f64 v[80:81], v[189:190], s[28:29]
	buffer_store_dword v80, off, s[44:47], 0 offset:272 ; 4-byte Folded Spill
	buffer_store_dword v81, off, s[44:47], 0 offset:276 ; 4-byte Folded Spill
	;; [unrolled: 1-line block ×10, first 2 shown]
	v_mul_f64 v[243:244], v[189:190], s[34:35]
	v_mul_f64 v[205:206], v[189:190], s[22:23]
	v_mul_f64 v[249:250], v[189:190], s[26:27]
	v_fma_f64 v[199:200], v[157:158], s[10:11], v[86:87]
	v_fma_f64 v[86:87], v[157:158], s[10:11], -v[86:87]
	v_fma_f64 v[80:81], v[177:178], s[14:15], -v[80:81]
	v_add_f64 v[193:194], v[110:111], -v[118:119]
	v_add_f64 v[181:182], v[82:83], v[120:121]
	v_mul_f64 v[110:111], v[76:77], s[22:23]
	v_fma_f64 v[82:83], v[155:156], s[12:13], v[131:132]
	v_mul_f64 v[118:119], v[187:188], s[20:21]
	v_mul_f64 v[120:121], v[189:190], s[20:21]
	;; [unrolled: 1-line block ×3, first 2 shown]
	v_add_f64 v[74:75], v[80:81], v[74:75]
	v_fma_f64 v[80:81], v[175:176], s[18:19], v[213:214]
	v_mul_f64 v[229:230], v[193:194], s[30:31]
	v_mul_f64 v[245:246], v[193:194], s[20:21]
	;; [unrolled: 1-line block ×3, first 2 shown]
	v_add_f64 v[92:93], v[80:81], v[72:73]
	v_fma_f64 v[72:73], v[181:182], s[18:19], -v[229:230]
	v_fma_f64 v[80:81], v[157:158], s[16:17], -v[225:226]
	v_add_f64 v[94:95], v[72:73], v[74:75]
	v_fma_f64 v[72:73], v[185:186], s[6:7], v[110:111]
	v_fma_f64 v[74:75], v[155:156], s[16:17], v[215:216]
	v_add_f64 v[72:73], v[100:101], v[72:73]
	v_add_f64 v[72:73], v[74:75], v[72:73]
	v_fma_f64 v[74:75], v[203:204], s[6:7], -v[114:115]
	v_add_f64 v[74:75], v[102:103], v[74:75]
	v_add_f64 v[74:75], v[80:81], v[74:75]
	v_fma_f64 v[80:81], v[159:160], s[18:19], v[219:220]
	v_add_f64 v[72:73], v[80:81], v[72:73]
	v_fma_f64 v[80:81], v[161:162], s[18:19], -v[231:232]
	v_add_f64 v[74:75], v[80:81], v[74:75]
	v_fma_f64 v[80:81], v[165:166], s[14:15], v[227:228]
	v_add_f64 v[72:73], v[80:81], v[72:73]
	v_fma_f64 v[80:81], v[169:170], s[14:15], -v[241:242]
	;; [unrolled: 4-line block ×4, first 2 shown]
	v_fma_f64 v[80:81], v[157:158], s[18:19], -v[239:240]
	v_add_f64 v[98:99], v[72:73], v[74:75]
	v_fma_f64 v[72:73], v[185:186], s[12:13], v[125:126]
	v_fma_f64 v[74:75], v[155:156], s[18:19], v[217:218]
	v_add_f64 v[72:73], v[100:101], v[72:73]
	v_add_f64 v[72:73], v[74:75], v[72:73]
	v_fma_f64 v[74:75], v[203:204], s[12:13], -v[129:130]
	v_add_f64 v[74:75], v[102:103], v[74:75]
	v_add_f64 v[74:75], v[80:81], v[74:75]
	v_fma_f64 v[80:81], v[159:160], s[16:17], v[211:212]
	v_add_f64 v[72:73], v[80:81], v[72:73]
	v_fma_f64 v[80:81], v[161:162], s[16:17], -v[221:222]
	v_add_f64 v[74:75], v[80:81], v[74:75]
	v_fma_f64 v[80:81], v[165:166], s[10:11], v[207:208]
	v_add_f64 v[72:73], v[80:81], v[72:73]
	v_fma_f64 v[80:81], v[169:170], s[10:11], -v[209:210]
	v_add_f64 v[74:75], v[80:81], v[74:75]
	v_mul_f64 v[80:81], v[187:188], s[22:23]
	buffer_store_dword v80, off, s[44:47], 0 offset:264 ; 4-byte Folded Spill
	buffer_store_dword v81, off, s[44:47], 0 offset:268 ; 4-byte Folded Spill
	v_mul_f64 v[187:188], v[187:188], s[24:25]
	v_fma_f64 v[80:81], v[171:172], s[6:7], v[80:81]
	v_add_f64 v[72:73], v[80:81], v[72:73]
	v_fma_f64 v[80:81], v[177:178], s[6:7], -v[205:206]
	v_add_f64 v[74:75], v[80:81], v[74:75]
	v_mul_f64 v[80:81], v[191:192], s[28:29]
	buffer_store_dword v80, off, s[44:47], 0 offset:240 ; 4-byte Folded Spill
	buffer_store_dword v81, off, s[44:47], 0 offset:244 ; 4-byte Folded Spill
	v_fma_f64 v[80:81], v[175:176], s[14:15], v[80:81]
	v_add_f64 v[88:89], v[80:81], v[72:73]
	v_mul_f64 v[72:73], v[193:194], s[28:29]
	buffer_store_dword v72, off, s[44:47], 0 offset:256 ; 4-byte Folded Spill
	buffer_store_dword v73, off, s[44:47], 0 offset:260 ; 4-byte Folded Spill
	v_fma_f64 v[80:81], v[157:158], s[14:15], -v[108:109]
	v_fma_f64 v[72:73], v[181:182], s[14:15], -v[72:73]
	v_add_f64 v[90:91], v[72:73], v[74:75]
	v_fma_f64 v[72:73], v[185:186], s[16:17], v[133:134]
	v_fma_f64 v[74:75], v[155:156], s[14:15], v[167:168]
	v_add_f64 v[72:73], v[100:101], v[72:73]
	v_add_f64 v[72:73], v[74:75], v[72:73]
	v_fma_f64 v[74:75], v[203:204], s[16:17], -v[139:140]
	v_add_f64 v[74:75], v[102:103], v[74:75]
	v_add_f64 v[74:75], v[80:81], v[74:75]
	v_fma_f64 v[80:81], v[159:160], s[10:11], v[163:164]
	v_add_f64 v[72:73], v[80:81], v[72:73]
	v_fma_f64 v[80:81], v[161:162], s[10:11], -v[106:107]
	v_add_f64 v[74:75], v[80:81], v[74:75]
	v_fma_f64 v[80:81], v[165:166], s[12:13], v[251:252]
	v_add_f64 v[72:73], v[80:81], v[72:73]
	v_fma_f64 v[80:81], v[169:170], s[12:13], -v[253:254]
	;; [unrolled: 4-line block ×4, first 2 shown]
	v_add_f64 v[74:75], v[80:81], v[74:75]
	v_fma_f64 v[80:81], v[185:186], s[14:15], v[143:144]
	v_add_f64 v[80:81], v[100:101], v[80:81]
	v_add_f64 v[80:81], v[82:83], v[80:81]
	v_fma_f64 v[82:83], v[203:204], s[14:15], -v[145:146]
	v_add_f64 v[82:83], v[102:103], v[82:83]
	v_add_f64 v[82:83], v[112:113], v[82:83]
	v_fma_f64 v[112:113], v[159:160], s[6:7], v[137:138]
	v_add_f64 v[80:81], v[112:113], v[80:81]
	v_fma_f64 v[112:113], v[161:162], s[6:7], -v[141:142]
	v_add_f64 v[82:83], v[112:113], v[82:83]
	v_fma_f64 v[112:113], v[165:166], s[18:19], v[122:123]
	v_add_f64 v[80:81], v[112:113], v[80:81]
	v_fma_f64 v[112:113], v[169:170], s[18:19], -v[127:128]
	;; [unrolled: 4-line block ×3, first 2 shown]
	v_add_f64 v[82:83], v[112:113], v[82:83]
	v_mul_f64 v[112:113], v[191:192], s[24:25]
	v_mul_f64 v[191:192], v[191:192], s[34:35]
	v_fma_f64 v[116:117], v[175:176], s[16:17], v[112:113]
	v_add_f64 v[80:81], v[116:117], v[80:81]
	v_mul_f64 v[116:117], v[193:194], s[24:25]
	v_mul_f64 v[193:194], v[193:194], s[34:35]
	v_fma_f64 v[195:196], v[181:182], s[16:17], -v[116:117]
	v_add_f64 v[82:83], v[195:196], v[82:83]
	v_mul_f64 v[195:196], v[76:77], s[30:31]
	v_fma_f64 v[76:77], v[185:186], s[18:19], -v[195:196]
	v_fma_f64 v[195:196], v[185:186], s[18:19], v[195:196]
	v_add_f64 v[76:77], v[100:101], v[76:77]
	v_add_f64 v[195:196], v[100:101], v[195:196]
	;; [unrolled: 1-line block ×3, first 2 shown]
	v_fma_f64 v[78:79], v[203:204], s[18:19], v[84:85]
	v_fma_f64 v[84:85], v[203:204], s[18:19], -v[84:85]
	v_add_f64 v[195:196], v[197:198], v[195:196]
	v_add_f64 v[78:79], v[102:103], v[78:79]
	;; [unrolled: 1-line block ×4, first 2 shown]
	v_fma_f64 v[199:200], v[159:160], s[14:15], -v[173:174]
	v_add_f64 v[84:85], v[86:87], v[84:85]
	v_fma_f64 v[86:87], v[159:160], s[14:15], v[173:174]
	v_fma_f64 v[173:174], v[181:182], s[12:13], -v[193:194]
	v_add_f64 v[76:77], v[199:200], v[76:77]
	v_fma_f64 v[199:200], v[161:162], s[14:15], v[149:150]
	v_fma_f64 v[149:150], v[161:162], s[14:15], -v[149:150]
	v_add_f64 v[86:87], v[86:87], v[195:196]
	v_add_f64 v[78:79], v[199:200], v[78:79]
	v_fma_f64 v[199:200], v[165:166], s[6:7], -v[179:180]
	v_add_f64 v[84:85], v[149:150], v[84:85]
	v_fma_f64 v[149:150], v[165:166], s[6:7], v[179:180]
	v_add_f64 v[76:77], v[199:200], v[76:77]
	v_fma_f64 v[199:200], v[169:170], s[6:7], v[183:184]
	v_add_f64 v[86:87], v[149:150], v[86:87]
	v_fma_f64 v[149:150], v[169:170], s[6:7], -v[183:184]
	v_add_f64 v[78:79], v[199:200], v[78:79]
	v_fma_f64 v[199:200], v[171:172], s[16:17], -v[187:188]
	v_add_f64 v[84:85], v[149:150], v[84:85]
	v_fma_f64 v[149:150], v[171:172], s[16:17], v[187:188]
	v_add_f64 v[76:77], v[199:200], v[76:77]
	v_fma_f64 v[199:200], v[177:178], s[16:17], v[189:190]
	v_add_f64 v[86:87], v[149:150], v[86:87]
	v_fma_f64 v[149:150], v[177:178], s[16:17], -v[189:190]
	v_add_f64 v[78:79], v[199:200], v[78:79]
	v_fma_f64 v[199:200], v[175:176], s[12:13], -v[191:192]
	v_add_f64 v[149:150], v[149:150], v[84:85]
	v_fma_f64 v[84:85], v[175:176], s[12:13], v[191:192]
	v_add_f64 v[76:77], v[199:200], v[76:77]
	v_fma_f64 v[199:200], v[181:182], s[12:13], v[193:194]
	v_add_f64 v[84:85], v[84:85], v[86:87]
	v_add_f64 v[86:87], v[173:174], v[149:150]
	;; [unrolled: 1-line block ×3, first 2 shown]
	s_and_saveexec_b32 s20, vcc_lo
	s_cbranch_execz .LBB0_5
; %bb.4:
	s_clause 0x1
	buffer_load_dword v179, off, s[44:47], 0 offset:216
	buffer_load_dword v180, off, s[44:47], 0 offset:220
	v_mul_f64 v[149:150], v[203:204], s[14:15]
	v_add_f64 v[153:154], v[102:103], v[153:154]
	v_mul_f64 v[173:174], v[185:186], s[10:11]
	v_add_f64 v[151:152], v[100:101], v[151:152]
	v_mul_f64 v[187:188], v[165:166], s[14:15]
	v_mul_f64 v[199:200], v[165:166], s[12:13]
	;; [unrolled: 1-line block ×7, first 2 shown]
	v_add_f64 v[145:146], v[145:146], v[149:150]
	v_mul_f64 v[149:150], v[185:186], s[14:15]
	v_add_f64 v[187:188], v[187:188], -v[227:228]
	v_add_f64 v[199:200], v[199:200], -v[251:252]
	;; [unrolled: 1-line block ×3, first 2 shown]
	v_add_f64 v[189:190], v[243:244], v[189:190]
	v_add_f64 v[191:192], v[191:192], -v[235:236]
	v_add_f64 v[193:194], v[245:246], v[193:194]
	v_add_f64 v[195:196], v[195:196], -v[233:234]
	;; [unrolled: 2-line block ×3, first 2 shown]
	v_mul_f64 v[149:150], v[203:204], s[16:17]
	v_add_f64 v[143:144], v[100:101], v[143:144]
	v_add_f64 v[139:140], v[139:140], v[149:150]
	v_mul_f64 v[149:150], v[185:186], s[16:17]
	v_add_f64 v[139:140], v[102:103], v[139:140]
	v_add_f64 v[133:134], v[149:150], -v[133:134]
	v_mul_f64 v[149:150], v[203:204], s[12:13]
	v_add_f64 v[133:134], v[100:101], v[133:134]
	v_add_f64 v[129:130], v[129:130], v[149:150]
	v_mul_f64 v[149:150], v[185:186], s[12:13]
	v_add_f64 v[129:130], v[102:103], v[129:130]
	v_add_f64 v[125:126], v[149:150], -v[125:126]
	v_mul_f64 v[149:150], v[203:204], s[6:7]
	v_add_f64 v[125:126], v[100:101], v[125:126]
	v_add_f64 v[114:115], v[114:115], v[149:150]
	v_mul_f64 v[149:150], v[185:186], s[6:7]
	v_mul_f64 v[185:186], v[169:170], s[14:15]
	v_add_f64 v[114:115], v[102:103], v[114:115]
	v_add_f64 v[110:111], v[149:150], -v[110:111]
	v_mul_f64 v[149:150], v[203:204], s[10:11]
	v_add_f64 v[185:186], v[241:242], v[185:186]
	v_add_f64 v[110:111], v[100:101], v[110:111]
	;; [unrolled: 1-line block ×4, first 2 shown]
	v_mul_f64 v[102:103], v[157:158], s[12:13]
	v_add_f64 v[102:103], v[135:136], v[102:103]
	v_mul_f64 v[135:136], v[159:160], s[6:7]
	v_add_f64 v[102:103], v[102:103], v[145:146]
	v_add_f64 v[135:136], v[135:136], -v[137:138]
	v_mul_f64 v[137:138], v[155:156], s[12:13]
	v_mul_f64 v[145:146], v[155:156], s[16:17]
	v_add_f64 v[131:132], v[137:138], -v[131:132]
	v_mul_f64 v[137:138], v[169:170], s[18:19]
	v_add_f64 v[145:146], v[145:146], -v[215:216]
	v_add_f64 v[131:132], v[131:132], v[143:144]
	s_waitcnt vmcnt(0)
	v_add_f64 v[173:174], v[173:174], -v[179:180]
	v_add_f64 v[127:128], v[127:128], v[137:138]
	v_mul_f64 v[137:138], v[165:166], s[18:19]
	v_mul_f64 v[143:144], v[157:158], s[16:17]
	;; [unrolled: 1-line block ×3, first 2 shown]
	v_add_f64 v[110:111], v[145:146], v[110:111]
	v_mul_f64 v[145:146], v[171:172], s[6:7]
	v_add_f64 v[173:174], v[100:101], v[173:174]
	v_mul_f64 v[100:101], v[161:162], s[6:7]
	v_add_f64 v[122:123], v[137:138], -v[122:123]
	v_mul_f64 v[137:138], v[177:178], s[10:11]
	v_add_f64 v[143:144], v[225:226], v[143:144]
	v_add_f64 v[179:180], v[231:232], v[179:180]
	;; [unrolled: 1-line block ×4, first 2 shown]
	v_mul_f64 v[141:142], v[175:176], s[18:19]
	v_add_f64 v[120:121], v[120:121], v[137:138]
	v_mul_f64 v[137:138], v[171:172], s[10:11]
	v_add_f64 v[114:115], v[143:144], v[114:115]
	v_add_f64 v[110:111], v[187:188], v[110:111]
	;; [unrolled: 1-line block ×4, first 2 shown]
	v_mul_f64 v[131:132], v[181:182], s[16:17]
	v_add_f64 v[118:119], v[137:138], -v[118:119]
	v_add_f64 v[114:115], v[179:180], v[114:115]
	v_add_f64 v[141:142], v[141:142], -v[213:214]
	v_add_f64 v[110:111], v[191:192], v[110:111]
	v_add_f64 v[100:101], v[127:128], v[100:101]
	;; [unrolled: 1-line block ×3, first 2 shown]
	v_mul_f64 v[122:123], v[175:176], s[16:17]
	v_add_f64 v[116:117], v[116:117], v[131:132]
	v_add_f64 v[114:115], v[185:186], v[114:115]
	;; [unrolled: 1-line block ×5, first 2 shown]
	v_add_f64 v[112:113], v[122:123], -v[112:113]
	v_add_f64 v[114:115], v[189:190], v[114:115]
	v_add_f64 v[102:103], v[116:117], v[100:101]
	s_clause 0x1
	buffer_load_dword v116, off, s[44:47], 0 offset:192
	buffer_load_dword v117, off, s[44:47], 0 offset:196
	v_add_f64 v[100:101], v[112:113], v[118:119]
	s_clause 0xf
	buffer_load_dword v118, off, s[44:47], 0 offset:184
	buffer_load_dword v119, off, s[44:47], 0 offset:188
	;; [unrolled: 1-line block ×16, first 2 shown]
	v_mul_f64 v[112:113], v[157:158], s[6:7]
	s_waitcnt vmcnt(16)
	v_add_f64 v[112:113], v[116:117], v[112:113]
	v_mul_f64 v[116:117], v[155:156], s[6:7]
	s_waitcnt vmcnt(0)
	v_add_f64 v[153:154], v[153:154], v[197:198]
	s_clause 0x3
	buffer_load_dword v197, off, s[44:47], 0 offset:48
	buffer_load_dword v198, off, s[44:47], 0 offset:52
	;; [unrolled: 1-line block ×4, first 2 shown]
	v_add_f64 v[112:113], v[112:113], v[149:150]
	v_add_f64 v[116:117], v[116:117], -v[118:119]
	v_mul_f64 v[118:119], v[161:162], s[12:13]
	v_add_f64 v[116:117], v[116:117], v[173:174]
	v_add_f64 v[118:119], v[120:121], v[118:119]
	v_mul_f64 v[120:121], v[159:160], s[12:13]
	v_add_f64 v[112:113], v[118:119], v[112:113]
	v_add_f64 v[120:121], v[120:121], -v[122:123]
	v_mul_f64 v[122:123], v[169:170], s[16:17]
	v_add_f64 v[116:117], v[120:121], v[116:117]
	v_add_f64 v[122:123], v[127:128], v[122:123]
	v_mul_f64 v[127:128], v[165:166], s[16:17]
	v_mul_f64 v[165:166], v[165:166], s[10:11]
	v_add_f64 v[112:113], v[122:123], v[112:113]
	v_add_f64 v[127:128], v[127:128], -v[131:132]
	v_add_f64 v[165:166], v[165:166], -v[207:208]
	v_mul_f64 v[131:132], v[177:178], s[14:15]
	v_add_f64 v[116:117], v[127:128], v[116:117]
	v_mul_f64 v[127:128], v[175:176], s[14:15]
	v_add_f64 v[131:132], v[135:136], v[131:132]
	;; [unrolled: 2-line block ×3, first 2 shown]
	v_add_f64 v[135:136], v[135:136], -v[137:138]
	v_mul_f64 v[137:138], v[181:182], s[18:19]
	v_add_f64 v[116:117], v[135:136], v[116:117]
	v_add_f64 v[137:138], v[229:230], v[137:138]
	s_waitcnt vmcnt(2)
	v_add_f64 v[151:152], v[151:152], v[197:198]
	s_waitcnt vmcnt(0)
	v_add_f64 v[153:154], v[153:154], v[201:202]
	s_clause 0x1
	buffer_load_dword v201, off, s[44:47], 0 offset:8
	buffer_load_dword v202, off, s[44:47], 0 offset:12
	v_mul_f64 v[197:198], v[157:158], s[14:15]
	v_mul_f64 v[157:158], v[157:158], s[18:19]
	v_add_f64 v[108:109], v[108:109], v[197:198]
	v_mul_f64 v[197:198], v[155:156], s[14:15]
	v_mul_f64 v[155:156], v[155:156], s[18:19]
	v_add_f64 v[157:158], v[239:240], v[157:158]
	v_add_f64 v[108:109], v[108:109], v[139:140]
	v_add_f64 v[167:168], v[197:198], -v[167:168]
	v_mul_f64 v[197:198], v[161:162], s[10:11]
	v_add_f64 v[155:156], v[155:156], -v[217:218]
	v_mul_f64 v[161:162], v[161:162], s[16:17]
	v_add_f64 v[129:130], v[157:158], v[129:130]
	v_add_f64 v[133:134], v[167:168], v[133:134]
	v_add_f64 v[106:107], v[106:107], v[197:198]
	v_mul_f64 v[197:198], v[159:160], s[10:11]
	v_mul_f64 v[159:160], v[159:160], s[16:17]
	v_add_f64 v[125:126], v[155:156], v[125:126]
	v_add_f64 v[161:162], v[221:222], v[161:162]
	;; [unrolled: 1-line block ×3, first 2 shown]
	v_add_f64 v[163:164], v[197:198], -v[163:164]
	v_add_f64 v[159:160], v[159:160], -v[211:212]
	v_mul_f64 v[197:198], v[169:170], s[12:13]
	v_add_f64 v[108:109], v[161:162], v[129:130]
	v_mul_f64 v[169:170], v[169:170], s[10:11]
	v_add_f64 v[120:121], v[163:164], v[133:134]
	v_add_f64 v[118:119], v[159:160], v[125:126]
	;; [unrolled: 1-line block ×3, first 2 shown]
	v_mul_f64 v[133:134], v[181:182], s[14:15]
	v_add_f64 v[169:170], v[209:210], v[169:170]
	v_add_f64 v[120:121], v[199:200], v[120:121]
	;; [unrolled: 1-line block ×5, first 2 shown]
	s_waitcnt vmcnt(0)
	v_add_f64 v[151:152], v[151:152], v[201:202]
	s_clause 0x1
	buffer_load_dword v201, off, s[44:47], 0 offset:32
	buffer_load_dword v202, off, s[44:47], 0 offset:36
	s_waitcnt vmcnt(0)
	v_add_f64 v[153:154], v[153:154], v[201:202]
	s_clause 0x1
	buffer_load_dword v201, off, s[44:47], 0 offset:24
	buffer_load_dword v202, off, s[44:47], 0 offset:28
	s_waitcnt vmcnt(0)
	v_add_f64 v[151:152], v[151:152], v[201:202]
	s_clause 0x1
	buffer_load_dword v201, off, s[44:47], 0 offset:56
	buffer_load_dword v202, off, s[44:47], 0 offset:60
	s_waitcnt vmcnt(0)
	v_add_f64 v[153:154], v[153:154], v[201:202]
	s_clause 0x3
	buffer_load_dword v201, off, s[44:47], 0 offset:40
	buffer_load_dword v202, off, s[44:47], 0 offset:44
	buffer_load_dword v203, off, s[44:47], 0 offset:80
	buffer_load_dword v204, off, s[44:47], 0 offset:84
	s_waitcnt vmcnt(2)
	v_add_f64 v[151:152], v[151:152], v[201:202]
	s_waitcnt vmcnt(0)
	v_add_f64 v[153:154], v[153:154], v[203:204]
	s_clause 0x3
	buffer_load_dword v203, off, s[44:47], 0 offset:64
	buffer_load_dword v204, off, s[44:47], 0 offset:68
	;; [unrolled: 1-line block ×4, first 2 shown]
	v_mul_f64 v[201:202], v[177:178], s[18:19]
	v_mul_f64 v[177:178], v[177:178], s[6:7]
	v_add_f64 v[201:202], v[249:250], v[201:202]
	v_add_f64 v[177:178], v[205:206], v[177:178]
	;; [unrolled: 1-line block ×5, first 2 shown]
	s_waitcnt vmcnt(2)
	v_add_f64 v[151:152], v[151:152], v[203:204]
	s_waitcnt vmcnt(0)
	v_add_f64 v[153:154], v[153:154], v[207:208]
	s_clause 0xb
	buffer_load_dword v207, off, s[44:47], 0 offset:104
	buffer_load_dword v208, off, s[44:47], 0 offset:108
	;; [unrolled: 1-line block ×12, first 2 shown]
	v_mul_f64 v[203:204], v[171:172], s[18:19]
	v_add_f64 v[203:204], v[203:204], -v[247:248]
	v_add_f64 v[135:136], v[203:204], v[120:121]
	s_waitcnt vmcnt(10)
	v_add_f64 v[151:152], v[151:152], v[207:208]
	s_waitcnt vmcnt(8)
	v_add_f64 v[139:140], v[153:154], v[139:140]
	s_waitcnt vmcnt(4)
	v_add_f64 v[145:146], v[145:146], -v[149:150]
	v_mul_f64 v[149:150], v[181:182], s[6:7]
	v_add_f64 v[143:144], v[151:152], v[143:144]
	s_waitcnt vmcnt(2)
	v_add_f64 v[125:126], v[139:140], v[125:126]
	s_clause 0x3
	buffer_load_dword v139, off, s[44:47], 0 offset:256
	buffer_load_dword v140, off, s[44:47], 0 offset:260
	;; [unrolled: 1-line block ×4, first 2 shown]
	v_add_f64 v[118:119], v[145:146], v[118:119]
	v_mul_f64 v[151:152], v[175:176], s[6:7]
	v_add_f64 v[149:150], v[237:238], v[149:150]
	s_waitcnt vmcnt(4)
	v_add_f64 v[129:130], v[143:144], v[129:130]
	v_add_f64 v[151:152], v[151:152], -v[223:224]
	v_add_f64 v[114:115], v[151:152], v[135:136]
	s_waitcnt vmcnt(2)
	v_add_f64 v[133:134], v[139:140], v[133:134]
	s_waitcnt vmcnt(0)
	v_add_f64 v[122:123], v[125:126], v[122:123]
	s_clause 0x1
	buffer_load_dword v125, off, s[44:47], 0 offset:144
	buffer_load_dword v126, off, s[44:47], 0 offset:148
	v_add_f64 v[120:121], v[133:134], v[131:132]
	s_waitcnt vmcnt(0)
	v_add_f64 v[125:126], v[129:130], v[125:126]
	s_clause 0x1
	buffer_load_dword v129, off, s[44:47], 0 offset:240
	buffer_load_dword v130, off, s[44:47], 0 offset:244
	s_waitcnt vmcnt(0)
	v_add_f64 v[127:128], v[127:128], -v[129:130]
	v_add_f64 v[129:130], v[201:202], v[106:107]
	s_clause 0x1
	buffer_load_dword v106, off, s[44:47], 0 offset:152
	buffer_load_dword v107, off, s[44:47], 0 offset:156
	v_add_f64 v[118:119], v[127:128], v[118:119]
	s_waitcnt vmcnt(0)
	v_add_f64 v[122:123], v[122:123], v[106:107]
	s_clause 0x3
	buffer_load_dword v106, off, s[44:47], 0 offset:136
	buffer_load_dword v107, off, s[44:47], 0 offset:140
	;; [unrolled: 1-line block ×4, first 2 shown]
	s_waitcnt vmcnt(2)
	v_add_f64 v[125:126], v[125:126], v[106:107]
	s_waitcnt vmcnt(0)
	v_add_f64 v[127:128], v[122:123], v[127:128]
	s_clause 0x1
	buffer_load_dword v122, off, s[44:47], 0 offset:128
	buffer_load_dword v123, off, s[44:47], 0 offset:132
	v_add_f64 v[106:107], v[141:142], v[116:117]
	v_add_f64 v[116:117], v[149:150], v[129:130]
	s_waitcnt vmcnt(0)
	v_add_f64 v[125:126], v[125:126], v[122:123]
	s_clause 0x1
	buffer_load_dword v122, off, s[44:47], 0
	buffer_load_dword v123, off, s[44:47], 0 offset:4
	s_waitcnt vmcnt(0)
	v_lshl_add_u32 v122, v122, 4, v123
	ds_write_b128 v122, v[76:79] offset:576
	ds_write_b128 v122, v[84:87] offset:672
	;; [unrolled: 1-line block ×11, first 2 shown]
	ds_write_b128 v255, v[125:128]
	ds_write_b128 v122, v[92:95] offset:1152
.LBB0_5:
	s_or_b32 exec_lo, exec_lo, s20
	s_add_u32 s6, s8, 0x4e0
	s_addc_u32 s7, s9, 0
	s_waitcnt lgkmcnt(0)
	s_waitcnt_vscnt null, 0x0
	s_barrier
	buffer_gl0_inv
	s_clause 0x5
	global_load_dwordx4 v[100:103], v[104:105], off offset:1248
	global_load_dwordx4 v[104:107], v147, s[6:7] offset:208
	global_load_dwordx4 v[108:111], v147, s[6:7] offset:416
	;; [unrolled: 1-line block ×5, first 2 shown]
	ds_read_b128 v[125:128], v255
	ds_read_b128 v[129:132], v255 offset:208
	ds_read_b128 v[133:136], v255 offset:416
	;; [unrolled: 1-line block ×5, first 2 shown]
	s_mov_b32 s6, 0xe8584caa
	s_mov_b32 s7, 0xbfebb67a
	;; [unrolled: 1-line block ×4, first 2 shown]
	s_waitcnt vmcnt(5) lgkmcnt(5)
	v_mul_f64 v[145:146], v[127:128], v[102:103]
	v_mul_f64 v[102:103], v[125:126], v[102:103]
	s_waitcnt vmcnt(4) lgkmcnt(4)
	v_mul_f64 v[153:154], v[131:132], v[106:107]
	v_mul_f64 v[106:107], v[129:130], v[106:107]
	;; [unrolled: 3-line block ×6, first 2 shown]
	v_fma_f64 v[125:126], v[125:126], v[100:101], -v[145:146]
	v_fma_f64 v[127:128], v[127:128], v[100:101], v[102:103]
	v_fma_f64 v[100:101], v[129:130], v[104:105], -v[153:154]
	v_fma_f64 v[102:103], v[131:132], v[104:105], v[106:107]
	;; [unrolled: 2-line block ×6, first 2 shown]
	ds_write_b128 v255, v[125:128]
	ds_write_b128 v255, v[100:103] offset:208
	ds_write_b128 v255, v[104:107] offset:416
	;; [unrolled: 1-line block ×5, first 2 shown]
	s_waitcnt lgkmcnt(0)
	s_barrier
	buffer_gl0_inv
	ds_read_b128 v[100:103], v255 offset:624
	ds_read_b128 v[104:107], v255 offset:1040
	;; [unrolled: 1-line block ×5, first 2 shown]
	s_waitcnt lgkmcnt(3)
	v_add_f64 v[120:121], v[102:103], v[106:107]
	v_add_f64 v[125:126], v[100:101], v[104:105]
	v_add_f64 v[127:128], v[100:101], -v[104:105]
	s_waitcnt lgkmcnt(0)
	v_add_f64 v[131:132], v[112:113], v[116:117]
	v_add_f64 v[133:134], v[114:115], v[118:119]
	v_add_f64 v[135:136], v[102:103], -v[106:107]
	v_add_f64 v[139:140], v[114:115], -v[118:119]
	v_add_f64 v[100:101], v[108:109], v[100:101]
	v_add_f64 v[102:103], v[110:111], v[102:103]
	v_fma_f64 v[129:130], v[120:121], -0.5, v[110:111]
	v_fma_f64 v[125:126], v[125:126], -0.5, v[108:109]
	ds_read_b128 v[120:123], v255
	s_waitcnt lgkmcnt(0)
	s_barrier
	buffer_gl0_inv
	v_add_f64 v[104:105], v[100:101], v[104:105]
	v_add_f64 v[106:107], v[102:103], v[106:107]
	v_fma_f64 v[137:138], v[127:128], s[8:9], v[129:130]
	v_fma_f64 v[127:128], v[127:128], s[6:7], v[129:130]
	v_add_f64 v[129:130], v[120:121], v[112:113]
	v_add_f64 v[114:115], v[122:123], v[114:115]
	v_add_f64 v[112:113], v[112:113], -v[116:117]
	v_fma_f64 v[108:109], v[131:132], -0.5, v[120:121]
	v_fma_f64 v[110:111], v[133:134], -0.5, v[122:123]
	v_fma_f64 v[120:121], v[135:136], s[6:7], v[125:126]
	v_fma_f64 v[122:123], v[135:136], s[8:9], v[125:126]
	v_mul_f64 v[125:126], v[137:138], s[6:7]
	v_mul_f64 v[131:132], v[127:128], s[6:7]
	v_mul_f64 v[133:134], v[137:138], 0.5
	v_mul_f64 v[127:128], v[127:128], -0.5
	v_add_f64 v[116:117], v[129:130], v[116:117]
	v_add_f64 v[114:115], v[114:115], v[118:119]
	v_fma_f64 v[129:130], v[139:140], s[6:7], v[108:109]
	v_fma_f64 v[135:136], v[139:140], s[8:9], v[108:109]
	;; [unrolled: 1-line block ×4, first 2 shown]
	v_fma_f64 v[108:109], v[120:121], 0.5, v[125:126]
	v_fma_f64 v[110:111], v[122:123], -0.5, v[131:132]
	v_fma_f64 v[125:126], v[120:121], s[8:9], v[133:134]
	v_fma_f64 v[127:128], v[122:123], s[8:9], v[127:128]
	v_add_f64 v[100:101], v[116:117], v[104:105]
	v_add_f64 v[102:103], v[114:115], v[106:107]
	v_add_f64 v[112:113], v[116:117], -v[104:105]
	v_add_f64 v[114:115], v[114:115], -v[106:107]
	v_add_f64 v[120:121], v[129:130], v[108:109]
	v_add_f64 v[116:117], v[135:136], v[110:111]
	;; [unrolled: 1-line block ×4, first 2 shown]
	v_add_f64 v[108:109], v[129:130], -v[108:109]
	v_add_f64 v[104:105], v[135:136], -v[110:111]
	v_add_f64 v[110:111], v[137:138], -v[125:126]
	v_add_f64 v[106:107], v[139:140], -v[127:128]
	ds_write_b128 v148, v[100:103]
	ds_write_b128 v148, v[112:115] offset:48
	ds_write_b128 v148, v[120:123] offset:16
	;; [unrolled: 1-line block ×5, first 2 shown]
	s_waitcnt lgkmcnt(0)
	s_barrier
	buffer_gl0_inv
	s_and_saveexec_b32 s6, vcc_lo
	s_cbranch_execz .LBB0_7
; %bb.6:
	ds_read_b128 v[100:103], v255
	ds_read_b128 v[120:123], v255 offset:96
	ds_read_b128 v[116:119], v255 offset:192
	;; [unrolled: 1-line block ×12, first 2 shown]
.LBB0_7:
	s_or_b32 exec_lo, exec_lo, s6
	s_mov_b32 s33, exec_lo
	buffer_load_dword v205, off, s[44:47], 0 ; 4-byte Folded Reload
	s_and_b32 s6, s33, vcc_lo
	s_mov_b32 exec_lo, s6
	s_cbranch_execz .LBB0_9
; %bb.8:
	s_waitcnt lgkmcnt(11)
	v_mul_f64 v[125:126], v[50:51], v[122:123]
	s_waitcnt lgkmcnt(0)
	v_mul_f64 v[127:128], v[70:71], v[94:95]
	v_mul_f64 v[50:51], v[50:51], v[120:121]
	;; [unrolled: 1-line block ×13, first 2 shown]
	s_mov_b32 s20, 0x4bc48dbf
	s_mov_b32 s21, 0xbfcea1e5
	v_mul_f64 v[133:134], v[30:31], v[78:79]
	s_mov_b32 s14, 0x93053d00
	s_mov_b32 s27, 0x3fddbe06
	;; [unrolled: 1-line block ×4, first 2 shown]
	v_mul_f64 v[30:31], v[30:31], v[76:77]
	v_fma_f64 v[70:71], v[48:49], v[120:121], v[125:126]
	v_fma_f64 v[38:39], v[68:69], v[92:93], v[127:128]
	v_fma_f64 v[92:93], v[48:49], v[122:123], -v[50:51]
	v_fma_f64 v[48:49], v[68:69], v[94:95], -v[129:130]
	v_mul_f64 v[120:121], v[34:35], v[104:105]
	v_mul_f64 v[125:126], v[42:43], v[80:81]
	;; [unrolled: 1-line block ×4, first 2 shown]
	v_fma_f64 v[66:67], v[56:57], v[116:117], v[131:132]
	v_fma_f64 v[34:35], v[64:65], v[96:97], v[139:140]
	v_fma_f64 v[68:69], v[56:57], v[118:119], -v[58:59]
	v_fma_f64 v[42:43], v[64:65], v[98:99], -v[141:142]
	v_mul_f64 v[122:123], v[26:27], v[110:111]
	v_mul_f64 v[127:128], v[46:47], v[74:75]
	;; [unrolled: 1-line block ×4, first 2 shown]
	v_fma_f64 v[118:119], v[28:29], v[76:77], v[133:134]
	s_mov_b32 s24, 0x24c2f84
	s_mov_b32 s12, 0xe00740e9
	;; [unrolled: 1-line block ×6, first 2 shown]
	v_add_f64 v[54:55], v[70:71], -v[38:39]
	s_mov_b32 s16, 0xd0032e0c
	v_add_f64 v[62:63], v[92:93], -v[48:49]
	v_add_f64 v[56:57], v[92:93], v[48:49]
	v_fma_f64 v[82:83], v[40:41], v[82:83], -v[125:126]
	v_fma_f64 v[94:95], v[52:53], v[112:113], v[50:51]
	v_fma_f64 v[46:47], v[60:61], v[88:89], v[129:130]
	v_fma_f64 v[88:89], v[52:53], v[114:115], -v[147:148]
	v_fma_f64 v[50:51], v[60:61], v[90:91], -v[149:150]
	v_add_f64 v[60:61], v[66:67], -v[34:35]
	v_add_f64 v[58:59], v[68:69], -v[42:43]
	v_add_f64 v[52:53], v[70:71], v[38:39]
	v_fma_f64 v[129:130], v[24:25], v[108:109], v[122:123]
	v_fma_f64 v[64:65], v[44:45], v[72:73], v[127:128]
	v_fma_f64 v[131:132], v[24:25], v[110:111], -v[26:27]
	v_fma_f64 v[44:45], v[44:45], v[74:75], -v[96:97]
	v_add_f64 v[96:97], v[68:69], v[42:43]
	v_add_f64 v[90:91], v[66:67], v[34:35]
	v_fma_f64 v[114:115], v[36:37], v[84:85], v[135:136]
	v_fma_f64 v[122:123], v[32:33], v[104:105], v[143:144]
	;; [unrolled: 1-line block ×3, first 2 shown]
	v_fma_f64 v[127:128], v[32:33], v[106:107], -v[120:121]
	v_mul_f64 v[98:99], v[54:55], s[20:21]
	v_mul_f64 v[133:134], v[54:55], s[24:25]
	;; [unrolled: 1-line block ×4, first 2 shown]
	s_mov_b32 s11, 0x3fefc445
	s_mov_b32 s29, 0x3fea55e2
	v_add_f64 v[110:111], v[94:95], -v[46:47]
	v_add_f64 v[72:73], v[94:95], v[46:47]
	v_add_f64 v[112:113], v[88:89], -v[50:51]
	v_mul_f64 v[24:25], v[60:61], s[26:27]
	v_mul_f64 v[26:27], v[58:59], s[26:27]
	v_add_f64 v[40:41], v[88:89], v[50:51]
	s_mov_b32 s17, 0xbfe7f3cc
	v_add_f64 v[104:105], v[129:130], -v[64:65]
	v_mul_f64 v[139:140], v[60:61], s[10:11]
	v_add_f64 v[106:107], v[131:132], -v[44:45]
	v_mul_f64 v[141:142], v[58:59], s[10:11]
	v_fma_f64 v[125:126], v[28:29], v[78:79], -v[30:31]
	v_fma_f64 v[120:121], v[36:37], v[86:87], -v[137:138]
	v_add_f64 v[32:33], v[131:132], v[44:45]
	v_add_f64 v[86:87], v[122:123], -v[84:85]
	v_add_f64 v[36:37], v[129:130], v[64:65]
	v_fma_f64 v[74:75], v[56:57], s[14:15], v[98:99]
	v_fma_f64 v[98:99], v[56:57], s[14:15], -v[98:99]
	v_fma_f64 v[76:77], v[52:53], s[14:15], -v[116:117]
	v_fma_f64 v[108:109], v[52:53], s[14:15], v[116:117]
	v_fma_f64 v[147:148], v[56:57], s[16:17], v[133:134]
	v_fma_f64 v[149:150], v[52:53], s[16:17], -v[135:136]
	v_mul_f64 v[80:81], v[110:111], s[24:25]
	s_mov_b32 s6, 0xebaa3ed8
	v_mul_f64 v[116:117], v[112:113], s[24:25]
	v_fma_f64 v[143:144], v[96:97], s[12:13], v[24:25]
	v_fma_f64 v[145:146], v[90:91], s[12:13], -v[26:27]
	v_fma_f64 v[24:25], v[96:97], s[12:13], -v[24:25]
	v_fma_f64 v[26:27], v[90:91], s[12:13], v[26:27]
	v_mul_f64 v[28:29], v[104:105], s[28:29]
	s_mov_b32 s18, 0x2ef20147
	v_mul_f64 v[30:31], v[106:107], s[28:29]
	s_mov_b32 s22, 0x1ea71119
	s_mov_b32 s7, 0x3fbedb7d
	;; [unrolled: 1-line block ×6, first 2 shown]
	v_add_f64 v[74:75], v[102:103], v[74:75]
	v_add_f64 v[151:152], v[102:103], v[98:99]
	;; [unrolled: 1-line block ×4, first 2 shown]
	v_add_f64 v[98:99], v[127:128], -v[82:83]
	v_mul_f64 v[137:138], v[110:111], s[30:31]
	v_fma_f64 v[155:156], v[40:41], s[16:17], v[80:81]
	v_fma_f64 v[159:160], v[40:41], s[16:17], -v[80:81]
	v_fma_f64 v[157:158], v[72:73], s[16:17], -v[116:117]
	v_fma_f64 v[161:162], v[72:73], s[16:17], v[116:117]
	v_mul_f64 v[153:154], v[112:113], s[30:31]
	v_fma_f64 v[163:164], v[96:97], s[6:7], v[139:140]
	v_fma_f64 v[165:166], v[90:91], s[6:7], -v[141:142]
	v_add_f64 v[147:148], v[102:103], v[147:148]
	v_add_f64 v[149:150], v[100:101], v[149:150]
	v_add_f64 v[78:79], v[127:128], v[82:83]
	v_add_f64 v[116:117], v[125:126], -v[120:121]
	v_add_f64 v[80:81], v[122:123], v[84:85]
	v_fma_f64 v[169:170], v[32:33], s[22:23], v[28:29]
	v_fma_f64 v[171:172], v[36:37], s[22:23], -v[30:31]
	v_fma_f64 v[28:29], v[32:33], s[22:23], -v[28:29]
	v_fma_f64 v[30:31], v[36:37], s[22:23], v[30:31]
	v_add_f64 v[74:75], v[143:144], v[74:75]
	v_add_f64 v[24:25], v[24:25], v[151:152]
	;; [unrolled: 1-line block ×4, first 2 shown]
	v_add_f64 v[108:109], v[118:119], -v[114:115]
	v_mul_f64 v[143:144], v[86:87], s[18:19]
	v_mul_f64 v[145:146], v[98:99], s[18:19]
	v_fma_f64 v[133:134], v[56:57], s[16:17], -v[133:134]
	s_mov_b32 s8, 0xb2365da1
	s_mov_b32 s9, 0xbfd6b1d8
	;; [unrolled: 1-line block ×4, first 2 shown]
	v_fma_f64 v[173:174], v[40:41], s[22:23], v[137:138]
	v_mul_f64 v[167:168], v[106:107], s[36:37]
	v_fma_f64 v[175:176], v[72:73], s[22:23], -v[153:154]
	v_add_f64 v[147:148], v[163:164], v[147:148]
	v_add_f64 v[149:150], v[165:166], v[149:150]
	v_mul_f64 v[177:178], v[54:55], s[18:19]
	v_mul_f64 v[179:180], v[62:63], s[18:19]
	s_mov_b32 s35, 0xbfefc445
	s_mov_b32 s39, 0x3fe5384d
	;; [unrolled: 1-line block ×3, first 2 shown]
	v_add_f64 v[155:156], v[155:156], v[74:75]
	v_add_f64 v[24:25], v[159:160], v[24:25]
	;; [unrolled: 1-line block ×6, first 2 shown]
	v_mul_f64 v[159:160], v[108:109], s[10:11]
	v_mul_f64 v[161:162], v[116:117], s[10:11]
	v_fma_f64 v[181:182], v[78:79], s[8:9], v[143:144]
	v_fma_f64 v[183:184], v[80:81], s[8:9], -v[145:146]
	v_fma_f64 v[143:144], v[78:79], s[8:9], -v[143:144]
	v_fma_f64 v[145:146], v[80:81], s[8:9], v[145:146]
	v_add_f64 v[133:134], v[102:103], v[133:134]
	s_mov_b32 s38, s24
	v_mul_f64 v[151:152], v[104:105], s[36:37]
	v_fma_f64 v[187:188], v[36:37], s[14:15], -v[167:168]
	v_add_f64 v[147:148], v[173:174], v[147:148]
	v_add_f64 v[149:150], v[175:176], v[149:150]
	v_fma_f64 v[175:176], v[56:57], s[8:9], v[177:178]
	v_fma_f64 v[191:192], v[52:53], s[8:9], -v[179:180]
	v_fma_f64 v[141:142], v[90:91], s[6:7], v[141:142]
	v_fma_f64 v[137:138], v[40:41], s[22:23], -v[137:138]
	v_add_f64 v[155:156], v[169:170], v[155:156]
	v_add_f64 v[24:25], v[28:29], v[24:25]
	;; [unrolled: 1-line block ×4, first 2 shown]
	v_fma_f64 v[28:29], v[52:53], s[16:17], v[135:136]
	v_fma_f64 v[30:31], v[96:97], s[6:7], -v[139:140]
	v_mul_f64 v[135:136], v[60:61], s[38:39]
	v_mul_f64 v[139:140], v[58:59], s[38:39]
	v_fma_f64 v[173:174], v[76:77], s[6:7], v[159:160]
	v_fma_f64 v[189:190], v[74:75], s[6:7], -v[161:162]
	v_fma_f64 v[159:160], v[76:77], s[6:7], -v[159:160]
	v_fma_f64 v[161:162], v[74:75], s[6:7], v[161:162]
	v_mul_f64 v[163:164], v[86:87], s[26:27]
	v_fma_f64 v[177:178], v[56:57], s[8:9], -v[177:178]
	v_fma_f64 v[185:186], v[32:33], s[14:15], v[151:152]
	v_fma_f64 v[179:180], v[52:53], s[8:9], v[179:180]
	v_add_f64 v[92:93], v[102:103], v[92:93]
	v_add_f64 v[149:150], v[187:188], v[149:150]
	v_mul_f64 v[187:188], v[112:113], s[26:27]
	v_add_f64 v[175:176], v[102:103], v[175:176]
	v_add_f64 v[191:192], v[100:101], v[191:192]
	;; [unrolled: 1-line block ×7, first 2 shown]
	v_mul_f64 v[181:182], v[54:55], s[34:35]
	v_add_f64 v[183:184], v[100:101], v[28:29]
	v_add_f64 v[133:134], v[30:31], v[133:134]
	v_fma_f64 v[197:198], v[96:97], s[16:17], v[135:136]
	v_fma_f64 v[201:202], v[90:91], s[16:17], -v[139:140]
	s_mov_b32 s41, 0x3fedeba7
	s_mov_b32 s40, s18
	v_mul_f64 v[165:166], v[98:99], s[26:27]
	v_fma_f64 v[193:194], v[78:79], s[12:13], v[163:164]
	v_fma_f64 v[151:152], v[32:33], s[14:15], -v[151:152]
	v_add_f64 v[147:148], v[185:186], v[147:148]
	v_mul_f64 v[185:186], v[110:111], s[26:27]
	v_fma_f64 v[135:136], v[96:97], s[16:17], -v[135:136]
	v_add_f64 v[177:178], v[102:103], v[177:178]
	v_fma_f64 v[139:140], v[90:91], s[16:17], v[139:140]
	v_add_f64 v[179:180], v[100:101], v[179:180]
	v_fma_f64 v[167:168], v[36:37], s[14:15], v[167:168]
	v_add_f64 v[68:69], v[92:93], v[68:69]
	v_add_f64 v[26:27], v[173:174], v[155:156]
	;; [unrolled: 1-line block ×3, first 2 shown]
	v_fma_f64 v[143:144], v[72:73], s[22:23], v[153:154]
	v_add_f64 v[28:29], v[161:162], v[145:146]
	v_mul_f64 v[145:146], v[60:61], s[20:21]
	v_fma_f64 v[153:154], v[56:57], s[6:7], v[181:182]
	v_add_f64 v[141:142], v[141:142], v[183:184]
	v_add_f64 v[133:134], v[137:138], v[133:134]
	v_mul_f64 v[137:138], v[62:63], s[34:35]
	v_add_f64 v[24:25], v[189:190], v[157:158]
	v_add_f64 v[159:160], v[197:198], v[175:176]
	v_fma_f64 v[173:174], v[72:73], s[12:13], -v[187:188]
	v_add_f64 v[175:176], v[201:202], v[191:192]
	v_mul_f64 v[183:184], v[110:111], s[40:41]
	v_add_f64 v[66:67], v[70:71], v[66:67]
	v_mul_f64 v[169:170], v[108:109], s[18:19]
	v_fma_f64 v[195:196], v[80:81], s[12:13], -v[165:166]
	v_mul_f64 v[155:156], v[104:105], s[34:35]
	v_fma_f64 v[157:158], v[40:41], s[12:13], v[185:186]
	v_mul_f64 v[161:162], v[106:107], s[34:35]
	v_add_f64 v[70:71], v[135:136], v[177:178]
	v_fma_f64 v[135:136], v[72:73], s[12:13], v[187:188]
	v_add_f64 v[139:140], v[139:140], v[179:180]
	v_add_f64 v[68:69], v[68:69], v[88:89]
	;; [unrolled: 1-line block ×3, first 2 shown]
	v_mul_f64 v[193:194], v[86:87], s[36:37]
	v_fma_f64 v[189:190], v[96:97], s[14:15], v[145:146]
	v_add_f64 v[153:154], v[102:103], v[153:154]
	v_add_f64 v[141:142], v[143:144], v[141:142]
	v_fma_f64 v[143:144], v[78:79], s[12:13], -v[163:164]
	v_mul_f64 v[163:164], v[58:59], s[20:21]
	v_fma_f64 v[191:192], v[52:53], s[6:7], -v[137:138]
	v_add_f64 v[92:93], v[151:152], v[133:134]
	v_fma_f64 v[133:134], v[56:57], s[6:7], -v[181:182]
	v_add_f64 v[173:174], v[173:174], v[175:176]
	v_fma_f64 v[175:176], v[40:41], s[12:13], -v[185:186]
	v_fma_f64 v[151:152], v[80:81], s[12:13], v[165:166]
	v_mul_f64 v[165:166], v[104:105], s[26:27]
	v_fma_f64 v[177:178], v[40:41], s[8:9], v[183:184]
	v_add_f64 v[66:67], v[66:67], v[94:95]
	v_fma_f64 v[199:200], v[76:77], s[8:9], v[169:170]
	v_add_f64 v[149:150], v[195:196], v[149:150]
	;; [unrolled: 2-line block ×3, first 2 shown]
	v_fma_f64 v[197:198], v[36:37], s[6:7], -v[161:162]
	v_fma_f64 v[155:156], v[32:33], s[6:7], -v[155:156]
	;; [unrolled: 1-line block ×3, first 2 shown]
	v_add_f64 v[135:136], v[135:136], v[139:140]
	v_fma_f64 v[139:140], v[76:77], s[8:9], -v[169:170]
	v_add_f64 v[153:154], v[189:190], v[153:154]
	v_add_f64 v[141:142], v[167:168], v[141:142]
	v_mul_f64 v[167:168], v[112:113], s[40:41]
	v_fma_f64 v[179:180], v[90:91], s[14:15], -v[163:164]
	v_add_f64 v[181:182], v[100:101], v[191:192]
	v_add_f64 v[92:93], v[143:144], v[92:93]
	;; [unrolled: 1-line block ×3, first 2 shown]
	v_fma_f64 v[133:134], v[36:37], s[6:7], v[161:162]
	v_add_f64 v[70:71], v[175:176], v[70:71]
	v_mul_f64 v[143:144], v[106:107], s[26:27]
	v_fma_f64 v[161:162], v[32:33], s[12:13], v[165:166]
	v_add_f64 v[68:69], v[68:69], v[131:132]
	v_add_f64 v[66:67], v[66:67], v[129:130]
	v_fma_f64 v[129:130], v[40:41], s[8:9], -v[183:184]
	v_mul_f64 v[183:184], v[116:117], s[26:27]
	v_mul_f64 v[159:160], v[98:99], s[36:37]
	v_fma_f64 v[187:188], v[78:79], s[14:15], v[193:194]
	v_add_f64 v[157:158], v[195:196], v[157:158]
	v_mul_f64 v[189:190], v[116:117], s[28:29]
	v_add_f64 v[173:174], v[197:198], v[173:174]
	v_fma_f64 v[165:166], v[32:33], s[12:13], -v[165:166]
	v_mul_f64 v[145:146], v[86:87], s[30:31]
	v_add_f64 v[153:154], v[177:178], v[153:154]
	v_mul_f64 v[185:186], v[108:109], s[28:29]
	v_fma_f64 v[169:170], v[72:73], s[8:9], -v[167:168]
	v_fma_f64 v[167:168], v[72:73], s[8:9], v[167:168]
	v_add_f64 v[175:176], v[179:180], v[181:182]
	v_mul_f64 v[181:182], v[108:109], s[26:27]
	s_mov_b32 s27, 0xbfddbe06
	v_fma_f64 v[179:180], v[78:79], s[14:15], -v[193:194]
	v_add_f64 v[70:71], v[155:156], v[70:71]
	v_add_f64 v[88:89], v[88:89], v[94:95]
	v_add_f64 v[131:132], v[133:134], v[135:136]
	v_fma_f64 v[135:136], v[52:53], s[6:7], v[137:138]
	v_add_f64 v[68:69], v[68:69], v[127:128]
	v_add_f64 v[66:67], v[66:67], v[122:123]
	v_mul_f64 v[122:123], v[62:63], s[26:27]
	v_mul_f64 v[62:63], v[62:63], s[30:31]
	v_fma_f64 v[191:192], v[80:81], s[14:15], -v[159:160]
	v_add_f64 v[157:158], v[187:188], v[157:158]
	v_fma_f64 v[177:178], v[74:75], s[22:23], -v[189:190]
	v_fma_f64 v[127:128], v[74:75], s[22:23], v[189:190]
	v_mul_f64 v[189:190], v[58:59], s[18:19]
	v_mul_f64 v[58:59], v[58:59], s[30:31]
	v_add_f64 v[153:154], v[161:162], v[153:154]
	v_fma_f64 v[161:162], v[36:37], s[12:13], -v[143:144]
	v_fma_f64 v[94:95], v[80:81], s[14:15], v[159:160]
	v_mul_f64 v[159:160], v[98:99], s[30:31]
	v_add_f64 v[169:170], v[169:170], v[175:176]
	v_mul_f64 v[175:176], v[54:55], s[30:31]
	v_mul_f64 v[54:55], v[54:55], s[26:27]
	v_fma_f64 v[143:144], v[36:37], s[12:13], v[143:144]
	v_add_f64 v[70:71], v[179:180], v[70:71]
	v_add_f64 v[88:89], v[129:130], v[88:89]
	v_fma_f64 v[129:130], v[90:91], s[14:15], v[163:164]
	v_add_f64 v[135:136], v[100:101], v[135:136]
	v_mul_f64 v[179:180], v[60:61], s[18:19]
	v_mul_f64 v[60:61], v[60:61], s[30:31]
	v_add_f64 v[68:69], v[68:69], v[125:126]
	v_add_f64 v[66:67], v[66:67], v[118:119]
	v_fma_f64 v[118:119], v[52:53], s[12:13], v[122:123]
	v_fma_f64 v[125:126], v[52:53], s[22:23], v[62:63]
	v_add_f64 v[173:174], v[191:192], v[173:174]
	v_fma_f64 v[62:63], v[52:53], s[22:23], -v[62:63]
	v_fma_f64 v[52:53], v[52:53], s[12:13], -v[122:123]
	v_fma_f64 v[193:194], v[90:91], s[22:23], v[58:59]
	v_fma_f64 v[58:59], v[90:91], s[22:23], -v[58:59]
	v_mul_f64 v[133:134], v[108:109], s[24:25]
	v_fma_f64 v[137:138], v[78:79], s[22:23], v[145:146]
	v_fma_f64 v[145:146], v[78:79], s[22:23], -v[145:146]
	v_add_f64 v[161:162], v[161:162], v[169:170]
	v_fma_f64 v[187:188], v[56:57], s[22:23], -v[175:176]
	v_fma_f64 v[169:170], v[56:57], s[12:13], -v[54:55]
	v_fma_f64 v[54:55], v[56:57], s[12:13], v[54:55]
	v_mul_f64 v[171:172], v[116:117], s[18:19]
	v_add_f64 v[88:89], v[165:166], v[88:89]
	v_fma_f64 v[165:166], v[56:57], s[22:23], v[175:176]
	v_add_f64 v[129:130], v[129:130], v[135:136]
	v_mul_f64 v[135:136], v[110:111], s[20:21]
	v_mul_f64 v[56:57], v[112:113], s[20:21]
	v_fma_f64 v[122:123], v[96:97], s[8:9], -v[179:180]
	v_mul_f64 v[110:111], v[110:111], s[34:35]
	v_mul_f64 v[112:113], v[112:113], s[34:35]
	v_fma_f64 v[191:192], v[96:97], s[22:23], -v[60:61]
	v_add_f64 v[68:69], v[68:69], v[120:121]
	v_add_f64 v[66:67], v[66:67], v[114:115]
	;; [unrolled: 1-line block ×4, first 2 shown]
	v_fma_f64 v[60:61], v[96:97], s[22:23], v[60:61]
	v_mul_f64 v[120:121], v[104:105], s[38:39]
	v_fma_f64 v[125:126], v[96:97], s[8:9], v[179:180]
	v_mul_f64 v[179:180], v[106:107], s[38:39]
	v_add_f64 v[62:63], v[100:101], v[62:63]
	v_add_f64 v[175:176], v[102:103], v[187:188]
	v_fma_f64 v[187:188], v[90:91], s[8:9], v[189:190]
	v_add_f64 v[169:170], v[102:103], v[169:170]
	v_add_f64 v[54:55], v[102:103], v[54:55]
	v_fma_f64 v[189:190], v[90:91], s[8:9], -v[189:190]
	v_add_f64 v[165:166], v[102:103], v[165:166]
	v_add_f64 v[52:53], v[100:101], v[52:53]
	v_fma_f64 v[90:91], v[40:41], s[14:15], -v[135:136]
	v_fma_f64 v[100:101], v[72:73], s[14:15], v[56:57]
	v_mul_f64 v[102:103], v[104:105], s[18:19]
	v_mul_f64 v[104:105], v[106:107], s[18:19]
	v_fma_f64 v[106:107], v[40:41], s[6:7], -v[110:111]
	v_fma_f64 v[56:57], v[72:73], s[14:15], -v[56:57]
	v_add_f64 v[68:69], v[68:69], v[82:83]
	v_add_f64 v[66:67], v[66:67], v[84:85]
	;; [unrolled: 1-line block ×3, first 2 shown]
	v_mul_f64 v[114:115], v[86:87], s[10:11]
	v_mul_f64 v[86:87], v[86:87], s[24:25]
	v_add_f64 v[141:142], v[151:152], v[141:142]
	v_fma_f64 v[151:152], v[76:77], s[22:23], v[185:186]
	v_mul_f64 v[155:156], v[116:117], s[24:25]
	v_fma_f64 v[185:186], v[76:77], s[22:23], -v[185:186]
	v_add_f64 v[96:97], v[122:123], v[175:176]
	v_add_f64 v[84:85], v[187:188], v[118:119]
	;; [unrolled: 1-line block ×3, first 2 shown]
	v_fma_f64 v[169:170], v[72:73], s[6:7], v[112:113]
	v_fma_f64 v[118:119], v[40:41], s[14:15], v[135:136]
	;; [unrolled: 1-line block ×3, first 2 shown]
	v_add_f64 v[54:55], v[60:61], v[54:55]
	v_add_f64 v[125:126], v[125:126], v[165:166]
	v_mul_f64 v[135:136], v[98:99], s[10:11]
	v_add_f64 v[62:63], v[189:190], v[62:63]
	v_fma_f64 v[60:61], v[72:73], s[6:7], -v[112:113]
	v_add_f64 v[52:53], v[58:59], v[52:53]
	v_fma_f64 v[58:59], v[32:33], s[16:17], -v[120:121]
	v_fma_f64 v[110:111], v[36:37], s[8:9], v[104:105]
	v_add_f64 v[44:45], v[68:69], v[44:45]
	v_add_f64 v[64:65], v[66:67], v[64:65]
	;; [unrolled: 1-line block ×3, first 2 shown]
	v_fma_f64 v[131:132], v[76:77], s[16:17], v[133:134]
	v_fma_f64 v[203:204], v[74:75], s[8:9], -v[171:172]
	v_fma_f64 v[171:172], v[74:75], s[8:9], v[171:172]
	v_add_f64 v[137:138], v[137:138], v[153:154]
	v_fma_f64 v[153:154], v[74:75], s[16:17], -v[155:156]
	v_add_f64 v[72:73], v[90:91], v[96:97]
	v_mul_f64 v[96:97], v[98:99], s[24:25]
	v_fma_f64 v[98:99], v[32:33], s[8:9], -v[102:103]
	v_add_f64 v[66:67], v[169:170], v[82:83]
	v_add_f64 v[68:69], v[100:101], v[84:85]
	;; [unrolled: 1-line block ×3, first 2 shown]
	v_fma_f64 v[100:101], v[32:33], s[16:17], v[120:121]
	v_fma_f64 v[32:33], v[32:33], s[8:9], v[102:103]
	v_add_f64 v[40:41], v[40:41], v[54:55]
	v_fma_f64 v[90:91], v[36:37], s[16:17], v[179:180]
	v_add_f64 v[106:107], v[106:107], v[122:123]
	v_add_f64 v[112:113], v[118:119], v[125:126]
	;; [unrolled: 1-line block ×3, first 2 shown]
	v_fma_f64 v[54:55], v[78:79], s[6:7], -v[114:115]
	v_mul_f64 v[62:63], v[108:109], s[20:21]
	v_fma_f64 v[102:103], v[78:79], s[16:17], -v[86:87]
	v_add_f64 v[44:45], v[44:45], v[50:51]
	v_fma_f64 v[118:119], v[36:37], s[16:17], -v[179:180]
	v_fma_f64 v[36:37], v[36:37], s[8:9], -v[104:105]
	v_add_f64 v[52:53], v[60:61], v[52:53]
	v_add_f64 v[46:47], v[64:65], v[46:47]
	v_fma_f64 v[163:164], v[80:81], s[22:23], -v[159:160]
	v_add_f64 v[58:59], v[58:59], v[72:73]
	v_mul_f64 v[72:73], v[116:117], s[20:21]
	v_fma_f64 v[84:85], v[80:81], s[22:23], v[159:160]
	v_add_f64 v[50:51], v[110:111], v[66:67]
	v_fma_f64 v[60:61], v[80:81], s[6:7], v[135:136]
	v_add_f64 v[66:67], v[143:144], v[82:83]
	v_fma_f64 v[82:83], v[78:79], s[6:7], v[114:115]
	v_fma_f64 v[78:79], v[78:79], s[16:17], v[86:87]
	v_add_f64 v[32:33], v[32:33], v[40:41]
	v_add_f64 v[64:65], v[90:91], v[68:69]
	;; [unrolled: 1-line block ×3, first 2 shown]
	v_fma_f64 v[68:69], v[76:77], s[16:17], -v[133:134]
	v_add_f64 v[90:91], v[100:101], v[112:113]
	v_fma_f64 v[86:87], v[76:77], s[12:13], -v[181:182]
	v_fma_f64 v[106:107], v[76:77], s[12:13], v[181:182]
	v_fma_f64 v[104:105], v[80:81], s[16:17], v[96:97]
	v_fma_f64 v[100:101], v[80:81], s[6:7], -v[135:136]
	v_fma_f64 v[40:41], v[80:81], s[16:17], -v[96:97]
	v_fma_f64 v[80:81], v[74:75], s[16:17], v[155:156]
	v_add_f64 v[36:37], v[36:37], v[52:53]
	v_add_f64 v[52:53], v[145:146], v[88:89]
	v_fma_f64 v[88:89], v[74:75], s[12:13], v[183:184]
	v_add_f64 v[54:55], v[54:55], v[58:59]
	v_fma_f64 v[58:59], v[76:77], s[14:15], -v[62:63]
	v_fma_f64 v[76:77], v[76:77], s[14:15], v[62:63]
	v_add_f64 v[56:57], v[118:119], v[56:57]
	v_add_f64 v[44:45], v[44:45], v[42:43]
	;; [unrolled: 1-line block ×8, first 2 shown]
	v_fma_f64 v[98:99], v[74:75], s[14:15], v[72:73]
	v_add_f64 v[82:83], v[82:83], v[90:91]
	v_fma_f64 v[90:91], v[74:75], s[12:13], -v[183:184]
	v_fma_f64 v[72:73], v[74:75], s[14:15], -v[72:73]
	v_add_f64 v[102:103], v[46:47], v[34:35]
	v_add_f64 v[104:105], v[104:105], v[50:51]
	;; [unrolled: 1-line block ×16, first 2 shown]
	buffer_load_dword v76, off, s[44:47], 0 offset:4 ; 4-byte Folded Reload
	v_add_f64 v[58:59], v[58:59], v[96:97]
	v_add_f64 v[52:53], v[88:89], v[64:65]
	;; [unrolled: 1-line block ×9, first 2 shown]
	s_waitcnt vmcnt(0)
	v_lshl_add_u32 v76, v205, 4, v76
	ds_write_b128 v255, v[60:63]
	ds_write_b128 v76, v[56:59] offset:96
	ds_write_b128 v76, v[52:55] offset:192
	;; [unrolled: 1-line block ×12, first 2 shown]
.LBB0_9:
	s_or_b32 exec_lo, exec_lo, s33
	s_waitcnt vmcnt(0) lgkmcnt(0)
	s_barrier
	buffer_gl0_inv
	ds_read_b128 v[24:27], v255
	ds_read_b128 v[28:31], v255 offset:208
	ds_read_b128 v[32:35], v255 offset:416
	;; [unrolled: 1-line block ×3, first 2 shown]
	v_mad_u64_u32 v[48:49], null, s2, v124, 0
	v_mad_u64_u32 v[50:51], null, s0, v205, 0
	ds_read_b128 v[40:43], v255 offset:832
	ds_read_b128 v[44:47], v255 offset:1040
	s_mul_hi_u32 s6, s0, 0xd0
	s_mulk_i32 s0, 0xd0
	v_mad_u64_u32 v[52:53], null, s3, v124, v[49:50]
	s_mov_b32 s2, 0x1a41a41a
	s_mov_b32 s3, 0x3f8a41a4
	s_waitcnt lgkmcnt(5)
	v_mul_f64 v[53:54], v[2:3], v[26:27]
	v_mul_f64 v[2:3], v[2:3], v[24:25]
	s_waitcnt lgkmcnt(4)
	v_mul_f64 v[55:56], v[6:7], v[30:31]
	v_mul_f64 v[6:7], v[6:7], v[28:29]
	v_mad_u64_u32 v[57:58], null, s1, v205, v[51:52]
	s_waitcnt lgkmcnt(3)
	v_mul_f64 v[58:59], v[10:11], v[34:35]
	v_mul_f64 v[10:11], v[10:11], v[32:33]
	s_waitcnt lgkmcnt(2)
	v_mul_f64 v[60:61], v[14:15], v[38:39]
	v_mul_f64 v[14:15], v[14:15], v[36:37]
	s_waitcnt lgkmcnt(1)
	v_mul_f64 v[62:63], v[18:19], v[42:43]
	v_mul_f64 v[18:19], v[18:19], v[40:41]
	s_waitcnt lgkmcnt(0)
	v_mul_f64 v[64:65], v[22:23], v[46:47]
	v_mul_f64 v[22:23], v[22:23], v[44:45]
	v_mov_b32_e32 v49, v52
	v_mov_b32_e32 v51, v57
	s_mulk_i32 s1, 0xd0
	s_add_i32 s6, s6, s1
	v_lshlrev_b64 v[48:49], 4, v[48:49]
	v_fma_f64 v[24:25], v[0:1], v[24:25], v[53:54]
	v_fma_f64 v[2:3], v[0:1], v[26:27], -v[2:3]
	v_fma_f64 v[26:27], v[4:5], v[28:29], v[55:56]
	v_fma_f64 v[6:7], v[4:5], v[30:31], -v[6:7]
	v_lshlrev_b64 v[0:1], 4, v[50:51]
	v_add_co_u32 v4, vcc_lo, s4, v48
	v_fma_f64 v[28:29], v[8:9], v[32:33], v[58:59]
	v_fma_f64 v[10:11], v[8:9], v[34:35], -v[10:11]
	v_fma_f64 v[30:31], v[12:13], v[36:37], v[60:61]
	v_fma_f64 v[14:15], v[12:13], v[38:39], -v[14:15]
	;; [unrolled: 2-line block ×4, first 2 shown]
	v_add_co_ci_u32_e32 v5, vcc_lo, s5, v49, vcc_lo
	v_add_co_u32 v36, vcc_lo, v4, v0
	v_add_co_ci_u32_e32 v37, vcc_lo, v5, v1, vcc_lo
	v_mul_f64 v[0:1], v[24:25], s[2:3]
	v_mul_f64 v[2:3], v[2:3], s[2:3]
	v_add_co_u32 v24, vcc_lo, v36, s0
	v_mul_f64 v[4:5], v[26:27], s[2:3]
	v_mul_f64 v[6:7], v[6:7], s[2:3]
	v_add_co_ci_u32_e32 v25, vcc_lo, s6, v37, vcc_lo
	v_mul_f64 v[8:9], v[28:29], s[2:3]
	v_mul_f64 v[10:11], v[10:11], s[2:3]
	;; [unrolled: 1-line block ×8, first 2 shown]
	v_add_co_u32 v26, vcc_lo, v24, s0
	v_add_co_ci_u32_e32 v27, vcc_lo, s6, v25, vcc_lo
	v_add_co_u32 v28, vcc_lo, v26, s0
	v_add_co_ci_u32_e32 v29, vcc_lo, s6, v27, vcc_lo
	global_store_dwordx4 v[36:37], v[0:3], off
	v_add_co_u32 v30, vcc_lo, v28, s0
	v_add_co_ci_u32_e32 v31, vcc_lo, s6, v29, vcc_lo
	v_add_co_u32 v0, vcc_lo, v30, s0
	v_add_co_ci_u32_e32 v1, vcc_lo, s6, v31, vcc_lo
	global_store_dwordx4 v[24:25], v[4:7], off
	global_store_dwordx4 v[26:27], v[8:11], off
	;; [unrolled: 1-line block ×5, first 2 shown]
.LBB0_10:
	s_endpgm
	.section	.rodata,"a",@progbits
	.p2align	6, 0x0
	.amdhsa_kernel bluestein_single_fwd_len78_dim1_dp_op_CI_CI
		.amdhsa_group_segment_fixed_size 23712
		.amdhsa_private_segment_fixed_size 284
		.amdhsa_kernarg_size 104
		.amdhsa_user_sgpr_count 6
		.amdhsa_user_sgpr_private_segment_buffer 1
		.amdhsa_user_sgpr_dispatch_ptr 0
		.amdhsa_user_sgpr_queue_ptr 0
		.amdhsa_user_sgpr_kernarg_segment_ptr 1
		.amdhsa_user_sgpr_dispatch_id 0
		.amdhsa_user_sgpr_flat_scratch_init 0
		.amdhsa_user_sgpr_private_segment_size 0
		.amdhsa_wavefront_size32 1
		.amdhsa_uses_dynamic_stack 0
		.amdhsa_system_sgpr_private_segment_wavefront_offset 1
		.amdhsa_system_sgpr_workgroup_id_x 1
		.amdhsa_system_sgpr_workgroup_id_y 0
		.amdhsa_system_sgpr_workgroup_id_z 0
		.amdhsa_system_sgpr_workgroup_info 0
		.amdhsa_system_vgpr_workitem_id 0
		.amdhsa_next_free_vgpr 256
		.amdhsa_next_free_sgpr 48
		.amdhsa_reserve_vcc 1
		.amdhsa_reserve_flat_scratch 0
		.amdhsa_float_round_mode_32 0
		.amdhsa_float_round_mode_16_64 0
		.amdhsa_float_denorm_mode_32 3
		.amdhsa_float_denorm_mode_16_64 3
		.amdhsa_dx10_clamp 1
		.amdhsa_ieee_mode 1
		.amdhsa_fp16_overflow 0
		.amdhsa_workgroup_processor_mode 1
		.amdhsa_memory_ordered 1
		.amdhsa_forward_progress 0
		.amdhsa_shared_vgpr_count 0
		.amdhsa_exception_fp_ieee_invalid_op 0
		.amdhsa_exception_fp_denorm_src 0
		.amdhsa_exception_fp_ieee_div_zero 0
		.amdhsa_exception_fp_ieee_overflow 0
		.amdhsa_exception_fp_ieee_underflow 0
		.amdhsa_exception_fp_ieee_inexact 0
		.amdhsa_exception_int_div_zero 0
	.end_amdhsa_kernel
	.text
.Lfunc_end0:
	.size	bluestein_single_fwd_len78_dim1_dp_op_CI_CI, .Lfunc_end0-bluestein_single_fwd_len78_dim1_dp_op_CI_CI
                                        ; -- End function
	.section	.AMDGPU.csdata,"",@progbits
; Kernel info:
; codeLenInByte = 13268
; NumSgprs: 50
; NumVgprs: 256
; ScratchSize: 284
; MemoryBound: 0
; FloatMode: 240
; IeeeMode: 1
; LDSByteSize: 23712 bytes/workgroup (compile time only)
; SGPRBlocks: 6
; VGPRBlocks: 31
; NumSGPRsForWavesPerEU: 50
; NumVGPRsForWavesPerEU: 256
; Occupancy: 4
; WaveLimiterHint : 1
; COMPUTE_PGM_RSRC2:SCRATCH_EN: 1
; COMPUTE_PGM_RSRC2:USER_SGPR: 6
; COMPUTE_PGM_RSRC2:TRAP_HANDLER: 0
; COMPUTE_PGM_RSRC2:TGID_X_EN: 1
; COMPUTE_PGM_RSRC2:TGID_Y_EN: 0
; COMPUTE_PGM_RSRC2:TGID_Z_EN: 0
; COMPUTE_PGM_RSRC2:TIDIG_COMP_CNT: 0
	.text
	.p2alignl 6, 3214868480
	.fill 48, 4, 3214868480
	.type	__hip_cuid_33f79d9c1ee236a1,@object ; @__hip_cuid_33f79d9c1ee236a1
	.section	.bss,"aw",@nobits
	.globl	__hip_cuid_33f79d9c1ee236a1
__hip_cuid_33f79d9c1ee236a1:
	.byte	0                               ; 0x0
	.size	__hip_cuid_33f79d9c1ee236a1, 1

	.ident	"AMD clang version 19.0.0git (https://github.com/RadeonOpenCompute/llvm-project roc-6.4.0 25133 c7fe45cf4b819c5991fe208aaa96edf142730f1d)"
	.section	".note.GNU-stack","",@progbits
	.addrsig
	.addrsig_sym __hip_cuid_33f79d9c1ee236a1
	.amdgpu_metadata
---
amdhsa.kernels:
  - .args:
      - .actual_access:  read_only
        .address_space:  global
        .offset:         0
        .size:           8
        .value_kind:     global_buffer
      - .actual_access:  read_only
        .address_space:  global
        .offset:         8
        .size:           8
        .value_kind:     global_buffer
      - .actual_access:  read_only
        .address_space:  global
        .offset:         16
        .size:           8
        .value_kind:     global_buffer
      - .actual_access:  read_only
        .address_space:  global
        .offset:         24
        .size:           8
        .value_kind:     global_buffer
      - .actual_access:  read_only
        .address_space:  global
        .offset:         32
        .size:           8
        .value_kind:     global_buffer
      - .offset:         40
        .size:           8
        .value_kind:     by_value
      - .address_space:  global
        .offset:         48
        .size:           8
        .value_kind:     global_buffer
      - .address_space:  global
        .offset:         56
        .size:           8
        .value_kind:     global_buffer
      - .address_space:  global
        .offset:         64
        .size:           8
        .value_kind:     global_buffer
      - .address_space:  global
        .offset:         72
        .size:           8
        .value_kind:     global_buffer
      - .offset:         80
        .size:           4
        .value_kind:     by_value
      - .address_space:  global
        .offset:         88
        .size:           8
        .value_kind:     global_buffer
      - .address_space:  global
        .offset:         96
        .size:           8
        .value_kind:     global_buffer
    .group_segment_fixed_size: 23712
    .kernarg_segment_align: 8
    .kernarg_segment_size: 104
    .language:       OpenCL C
    .language_version:
      - 2
      - 0
    .max_flat_workgroup_size: 247
    .name:           bluestein_single_fwd_len78_dim1_dp_op_CI_CI
    .private_segment_fixed_size: 284
    .sgpr_count:     50
    .sgpr_spill_count: 0
    .symbol:         bluestein_single_fwd_len78_dim1_dp_op_CI_CI.kd
    .uniform_work_group_size: 1
    .uses_dynamic_stack: false
    .vgpr_count:     256
    .vgpr_spill_count: 70
    .wavefront_size: 32
    .workgroup_processor_mode: 1
amdhsa.target:   amdgcn-amd-amdhsa--gfx1030
amdhsa.version:
  - 1
  - 2
...

	.end_amdgpu_metadata
